;; amdgpu-corpus repo=ROCm/rocFFT kind=compiled arch=gfx1201 opt=O3
	.text
	.amdgcn_target "amdgcn-amd-amdhsa--gfx1201"
	.amdhsa_code_object_version 6
	.protected	fft_rtc_fwd_len1560_factors_13_2_2_10_3_wgs_156_tpt_156_sp_op_CI_CI_unitstride_sbrr_R2C_dirReg ; -- Begin function fft_rtc_fwd_len1560_factors_13_2_2_10_3_wgs_156_tpt_156_sp_op_CI_CI_unitstride_sbrr_R2C_dirReg
	.globl	fft_rtc_fwd_len1560_factors_13_2_2_10_3_wgs_156_tpt_156_sp_op_CI_CI_unitstride_sbrr_R2C_dirReg
	.p2align	8
	.type	fft_rtc_fwd_len1560_factors_13_2_2_10_3_wgs_156_tpt_156_sp_op_CI_CI_unitstride_sbrr_R2C_dirReg,@function
fft_rtc_fwd_len1560_factors_13_2_2_10_3_wgs_156_tpt_156_sp_op_CI_CI_unitstride_sbrr_R2C_dirReg: ; @fft_rtc_fwd_len1560_factors_13_2_2_10_3_wgs_156_tpt_156_sp_op_CI_CI_unitstride_sbrr_R2C_dirReg
; %bb.0:
	s_clause 0x2
	s_load_b128 s[8:11], s[0:1], 0x0
	s_load_b128 s[4:7], s[0:1], 0x58
	;; [unrolled: 1-line block ×3, first 2 shown]
	v_mul_u32_u24_e32 v1, 0x1a5, v0
	v_mov_b32_e32 v3, 0
	s_delay_alu instid0(VALU_DEP_2) | instskip(NEXT) | instid1(VALU_DEP_1)
	v_lshrrev_b32_e32 v1, 16, v1
	v_add_nc_u32_e32 v5, ttmp9, v1
	v_mov_b32_e32 v1, 0
	v_mov_b32_e32 v2, 0
	;; [unrolled: 1-line block ×3, first 2 shown]
	s_wait_kmcnt 0x0
	v_cmp_lt_u64_e64 s2, s[10:11], 2
	s_delay_alu instid0(VALU_DEP_1)
	s_and_b32 vcc_lo, exec_lo, s2
	s_cbranch_vccnz .LBB0_8
; %bb.1:
	s_load_b64 s[2:3], s[0:1], 0x10
	v_mov_b32_e32 v1, 0
	v_mov_b32_e32 v2, 0
	s_add_nc_u64 s[16:17], s[14:15], 8
	s_add_nc_u64 s[18:19], s[12:13], 8
	s_mov_b64 s[20:21], 1
	s_delay_alu instid0(VALU_DEP_1)
	v_dual_mov_b32 v25, v2 :: v_dual_mov_b32 v24, v1
	s_wait_kmcnt 0x0
	s_add_nc_u64 s[22:23], s[2:3], 8
	s_mov_b32 s3, 0
.LBB0_2:                                ; =>This Inner Loop Header: Depth=1
	s_load_b64 s[24:25], s[22:23], 0x0
                                        ; implicit-def: $vgpr28_vgpr29
	s_mov_b32 s2, exec_lo
	s_wait_kmcnt 0x0
	v_or_b32_e32 v4, s25, v6
	s_delay_alu instid0(VALU_DEP_1)
	v_cmpx_ne_u64_e32 0, v[3:4]
	s_wait_alu 0xfffe
	s_xor_b32 s26, exec_lo, s2
	s_cbranch_execz .LBB0_4
; %bb.3:                                ;   in Loop: Header=BB0_2 Depth=1
	s_cvt_f32_u32 s2, s24
	s_cvt_f32_u32 s27, s25
	s_sub_nc_u64 s[30:31], 0, s[24:25]
	s_wait_alu 0xfffe
	s_delay_alu instid0(SALU_CYCLE_1) | instskip(SKIP_1) | instid1(SALU_CYCLE_2)
	s_fmamk_f32 s2, s27, 0x4f800000, s2
	s_wait_alu 0xfffe
	v_s_rcp_f32 s2, s2
	s_delay_alu instid0(TRANS32_DEP_1) | instskip(SKIP_1) | instid1(SALU_CYCLE_2)
	s_mul_f32 s2, s2, 0x5f7ffffc
	s_wait_alu 0xfffe
	s_mul_f32 s27, s2, 0x2f800000
	s_wait_alu 0xfffe
	s_delay_alu instid0(SALU_CYCLE_2) | instskip(SKIP_1) | instid1(SALU_CYCLE_2)
	s_trunc_f32 s27, s27
	s_wait_alu 0xfffe
	s_fmamk_f32 s2, s27, 0xcf800000, s2
	s_cvt_u32_f32 s29, s27
	s_wait_alu 0xfffe
	s_delay_alu instid0(SALU_CYCLE_1) | instskip(SKIP_1) | instid1(SALU_CYCLE_2)
	s_cvt_u32_f32 s28, s2
	s_wait_alu 0xfffe
	s_mul_u64 s[34:35], s[30:31], s[28:29]
	s_wait_alu 0xfffe
	s_mul_hi_u32 s37, s28, s35
	s_mul_i32 s36, s28, s35
	s_mul_hi_u32 s2, s28, s34
	s_mul_i32 s33, s29, s34
	s_wait_alu 0xfffe
	s_add_nc_u64 s[36:37], s[2:3], s[36:37]
	s_mul_hi_u32 s27, s29, s34
	s_mul_hi_u32 s38, s29, s35
	s_add_co_u32 s2, s36, s33
	s_wait_alu 0xfffe
	s_add_co_ci_u32 s2, s37, s27
	s_mul_i32 s34, s29, s35
	s_add_co_ci_u32 s35, s38, 0
	s_wait_alu 0xfffe
	s_add_nc_u64 s[34:35], s[2:3], s[34:35]
	s_wait_alu 0xfffe
	v_add_co_u32 v4, s2, s28, s34
	s_delay_alu instid0(VALU_DEP_1) | instskip(SKIP_1) | instid1(VALU_DEP_1)
	s_cmp_lg_u32 s2, 0
	s_add_co_ci_u32 s29, s29, s35
	v_readfirstlane_b32 s28, v4
	s_wait_alu 0xfffe
	s_delay_alu instid0(VALU_DEP_1)
	s_mul_u64 s[30:31], s[30:31], s[28:29]
	s_wait_alu 0xfffe
	s_mul_hi_u32 s35, s28, s31
	s_mul_i32 s34, s28, s31
	s_mul_hi_u32 s2, s28, s30
	s_mul_i32 s33, s29, s30
	s_wait_alu 0xfffe
	s_add_nc_u64 s[34:35], s[2:3], s[34:35]
	s_mul_hi_u32 s27, s29, s30
	s_mul_hi_u32 s28, s29, s31
	s_wait_alu 0xfffe
	s_add_co_u32 s2, s34, s33
	s_add_co_ci_u32 s2, s35, s27
	s_mul_i32 s30, s29, s31
	s_add_co_ci_u32 s31, s28, 0
	s_wait_alu 0xfffe
	s_add_nc_u64 s[30:31], s[2:3], s[30:31]
	s_wait_alu 0xfffe
	v_add_co_u32 v4, s2, v4, s30
	s_delay_alu instid0(VALU_DEP_1) | instskip(SKIP_1) | instid1(VALU_DEP_1)
	s_cmp_lg_u32 s2, 0
	s_add_co_ci_u32 s2, s29, s31
	v_mul_hi_u32 v13, v5, v4
	s_wait_alu 0xfffe
	v_mad_co_u64_u32 v[7:8], null, v5, s2, 0
	v_mad_co_u64_u32 v[9:10], null, v6, v4, 0
	;; [unrolled: 1-line block ×3, first 2 shown]
	s_delay_alu instid0(VALU_DEP_3) | instskip(SKIP_1) | instid1(VALU_DEP_4)
	v_add_co_u32 v4, vcc_lo, v13, v7
	s_wait_alu 0xfffd
	v_add_co_ci_u32_e32 v7, vcc_lo, 0, v8, vcc_lo
	s_delay_alu instid0(VALU_DEP_2) | instskip(SKIP_1) | instid1(VALU_DEP_2)
	v_add_co_u32 v4, vcc_lo, v4, v9
	s_wait_alu 0xfffd
	v_add_co_ci_u32_e32 v4, vcc_lo, v7, v10, vcc_lo
	s_wait_alu 0xfffd
	v_add_co_ci_u32_e32 v7, vcc_lo, 0, v12, vcc_lo
	s_delay_alu instid0(VALU_DEP_2) | instskip(SKIP_1) | instid1(VALU_DEP_2)
	v_add_co_u32 v4, vcc_lo, v4, v11
	s_wait_alu 0xfffd
	v_add_co_ci_u32_e32 v9, vcc_lo, 0, v7, vcc_lo
	s_delay_alu instid0(VALU_DEP_2) | instskip(SKIP_1) | instid1(VALU_DEP_3)
	v_mul_lo_u32 v10, s25, v4
	v_mad_co_u64_u32 v[7:8], null, s24, v4, 0
	v_mul_lo_u32 v11, s24, v9
	s_delay_alu instid0(VALU_DEP_2) | instskip(NEXT) | instid1(VALU_DEP_2)
	v_sub_co_u32 v7, vcc_lo, v5, v7
	v_add3_u32 v8, v8, v11, v10
	s_delay_alu instid0(VALU_DEP_1) | instskip(SKIP_1) | instid1(VALU_DEP_1)
	v_sub_nc_u32_e32 v10, v6, v8
	s_wait_alu 0xfffd
	v_subrev_co_ci_u32_e64 v10, s2, s25, v10, vcc_lo
	v_add_co_u32 v11, s2, v4, 2
	s_wait_alu 0xf1ff
	v_add_co_ci_u32_e64 v12, s2, 0, v9, s2
	v_sub_co_u32 v13, s2, v7, s24
	v_sub_co_ci_u32_e32 v8, vcc_lo, v6, v8, vcc_lo
	s_wait_alu 0xf1ff
	v_subrev_co_ci_u32_e64 v10, s2, 0, v10, s2
	s_delay_alu instid0(VALU_DEP_3) | instskip(NEXT) | instid1(VALU_DEP_3)
	v_cmp_le_u32_e32 vcc_lo, s24, v13
	v_cmp_eq_u32_e64 s2, s25, v8
	s_wait_alu 0xfffd
	v_cndmask_b32_e64 v13, 0, -1, vcc_lo
	v_cmp_le_u32_e32 vcc_lo, s25, v10
	s_wait_alu 0xfffd
	v_cndmask_b32_e64 v14, 0, -1, vcc_lo
	v_cmp_le_u32_e32 vcc_lo, s24, v7
	;; [unrolled: 3-line block ×3, first 2 shown]
	s_wait_alu 0xfffd
	v_cndmask_b32_e64 v15, 0, -1, vcc_lo
	v_cmp_eq_u32_e32 vcc_lo, s25, v10
	s_wait_alu 0xf1ff
	s_delay_alu instid0(VALU_DEP_2)
	v_cndmask_b32_e64 v7, v15, v7, s2
	s_wait_alu 0xfffd
	v_cndmask_b32_e32 v10, v14, v13, vcc_lo
	v_add_co_u32 v13, vcc_lo, v4, 1
	s_wait_alu 0xfffd
	v_add_co_ci_u32_e32 v14, vcc_lo, 0, v9, vcc_lo
	s_delay_alu instid0(VALU_DEP_3) | instskip(SKIP_1) | instid1(VALU_DEP_2)
	v_cmp_ne_u32_e32 vcc_lo, 0, v10
	s_wait_alu 0xfffd
	v_cndmask_b32_e32 v8, v14, v12, vcc_lo
	v_cndmask_b32_e32 v10, v13, v11, vcc_lo
	v_cmp_ne_u32_e32 vcc_lo, 0, v7
	s_wait_alu 0xfffd
	s_delay_alu instid0(VALU_DEP_2)
	v_dual_cndmask_b32 v29, v9, v8 :: v_dual_cndmask_b32 v28, v4, v10
.LBB0_4:                                ;   in Loop: Header=BB0_2 Depth=1
	s_wait_alu 0xfffe
	s_and_not1_saveexec_b32 s2, s26
	s_cbranch_execz .LBB0_6
; %bb.5:                                ;   in Loop: Header=BB0_2 Depth=1
	v_cvt_f32_u32_e32 v4, s24
	s_sub_co_i32 s26, 0, s24
	v_mov_b32_e32 v29, v3
	s_delay_alu instid0(VALU_DEP_2) | instskip(NEXT) | instid1(TRANS32_DEP_1)
	v_rcp_iflag_f32_e32 v4, v4
	v_mul_f32_e32 v4, 0x4f7ffffe, v4
	s_delay_alu instid0(VALU_DEP_1) | instskip(SKIP_1) | instid1(VALU_DEP_1)
	v_cvt_u32_f32_e32 v4, v4
	s_wait_alu 0xfffe
	v_mul_lo_u32 v7, s26, v4
	s_delay_alu instid0(VALU_DEP_1) | instskip(NEXT) | instid1(VALU_DEP_1)
	v_mul_hi_u32 v7, v4, v7
	v_add_nc_u32_e32 v4, v4, v7
	s_delay_alu instid0(VALU_DEP_1) | instskip(NEXT) | instid1(VALU_DEP_1)
	v_mul_hi_u32 v4, v5, v4
	v_mul_lo_u32 v7, v4, s24
	v_add_nc_u32_e32 v8, 1, v4
	s_delay_alu instid0(VALU_DEP_2) | instskip(NEXT) | instid1(VALU_DEP_1)
	v_sub_nc_u32_e32 v7, v5, v7
	v_subrev_nc_u32_e32 v9, s24, v7
	v_cmp_le_u32_e32 vcc_lo, s24, v7
	s_wait_alu 0xfffd
	s_delay_alu instid0(VALU_DEP_2) | instskip(NEXT) | instid1(VALU_DEP_1)
	v_dual_cndmask_b32 v7, v7, v9 :: v_dual_cndmask_b32 v4, v4, v8
	v_cmp_le_u32_e32 vcc_lo, s24, v7
	s_delay_alu instid0(VALU_DEP_2) | instskip(SKIP_1) | instid1(VALU_DEP_1)
	v_add_nc_u32_e32 v8, 1, v4
	s_wait_alu 0xfffd
	v_cndmask_b32_e32 v28, v4, v8, vcc_lo
.LBB0_6:                                ;   in Loop: Header=BB0_2 Depth=1
	s_wait_alu 0xfffe
	s_or_b32 exec_lo, exec_lo, s2
	v_mul_lo_u32 v4, v29, s24
	s_delay_alu instid0(VALU_DEP_2)
	v_mul_lo_u32 v9, v28, s25
	s_load_b64 s[26:27], s[18:19], 0x0
	v_mad_co_u64_u32 v[7:8], null, v28, s24, 0
	s_load_b64 s[24:25], s[16:17], 0x0
	s_add_nc_u64 s[20:21], s[20:21], 1
	s_add_nc_u64 s[16:17], s[16:17], 8
	s_wait_alu 0xfffe
	v_cmp_ge_u64_e64 s2, s[20:21], s[10:11]
	s_add_nc_u64 s[18:19], s[18:19], 8
	s_add_nc_u64 s[22:23], s[22:23], 8
	v_add3_u32 v4, v8, v9, v4
	v_sub_co_u32 v5, vcc_lo, v5, v7
	s_wait_alu 0xfffd
	s_delay_alu instid0(VALU_DEP_2) | instskip(SKIP_2) | instid1(VALU_DEP_1)
	v_sub_co_ci_u32_e32 v4, vcc_lo, v6, v4, vcc_lo
	s_and_b32 vcc_lo, exec_lo, s2
	s_wait_kmcnt 0x0
	v_mul_lo_u32 v6, s26, v4
	v_mul_lo_u32 v7, s27, v5
	v_mad_co_u64_u32 v[1:2], null, s26, v5, v[1:2]
	v_mul_lo_u32 v4, s24, v4
	v_mul_lo_u32 v8, s25, v5
	v_mad_co_u64_u32 v[24:25], null, s24, v5, v[24:25]
	s_delay_alu instid0(VALU_DEP_4) | instskip(NEXT) | instid1(VALU_DEP_2)
	v_add3_u32 v2, v7, v2, v6
	v_add3_u32 v25, v8, v25, v4
	s_wait_alu 0xfffe
	s_cbranch_vccnz .LBB0_9
; %bb.7:                                ;   in Loop: Header=BB0_2 Depth=1
	v_dual_mov_b32 v5, v28 :: v_dual_mov_b32 v6, v29
	s_branch .LBB0_2
.LBB0_8:
	v_dual_mov_b32 v25, v2 :: v_dual_mov_b32 v24, v1
	v_dual_mov_b32 v29, v6 :: v_dual_mov_b32 v28, v5
.LBB0_9:
	s_load_b64 s[0:1], s[0:1], 0x28
	v_mul_hi_u32 v3, 0x1a41a42, v0
                                        ; implicit-def: $vgpr26
	s_wait_kmcnt 0x0
	s_delay_alu instid0(VALU_DEP_2) | instskip(SKIP_1) | instid1(VALU_DEP_1)
	v_cmp_gt_u64_e32 vcc_lo, s[0:1], v[28:29]
	v_cmp_le_u64_e64 s0, s[0:1], v[28:29]
	s_and_saveexec_b32 s1, s0
	s_wait_alu 0xfffe
	s_xor_b32 s0, exec_lo, s1
; %bb.10:
	s_delay_alu instid0(VALU_DEP_3) | instskip(NEXT) | instid1(VALU_DEP_1)
	v_mul_u32_u24_e32 v1, 0x9c, v3
                                        ; implicit-def: $vgpr3
	v_sub_nc_u32_e32 v26, v0, v1
                                        ; implicit-def: $vgpr0
                                        ; implicit-def: $vgpr1_vgpr2
; %bb.11:
	s_wait_alu 0xfffe
	s_or_saveexec_b32 s1, s0
	s_lshl_b64 s[2:3], s[10:11], 3
	s_wait_alu 0xfffe
	s_xor_b32 exec_lo, exec_lo, s1
	s_cbranch_execz .LBB0_13
; %bb.12:
	s_add_nc_u64 s[10:11], s[12:13], s[2:3]
	v_lshlrev_b64_e32 v[1:2], 3, v[1:2]
	s_load_b64 s[10:11], s[10:11], 0x0
	s_wait_kmcnt 0x0
	v_mul_lo_u32 v6, s11, v28
	v_mul_lo_u32 v7, s10, v29
	v_mad_co_u64_u32 v[4:5], null, s10, v28, 0
	s_delay_alu instid0(VALU_DEP_1) | instskip(SKIP_1) | instid1(VALU_DEP_2)
	v_add3_u32 v5, v5, v7, v6
	v_mul_u32_u24_e32 v6, 0x9c, v3
	v_lshlrev_b64_e32 v[3:4], 3, v[4:5]
	s_delay_alu instid0(VALU_DEP_2) | instskip(NEXT) | instid1(VALU_DEP_1)
	v_sub_nc_u32_e32 v26, v0, v6
	v_lshlrev_b32_e32 v20, 3, v26
	s_delay_alu instid0(VALU_DEP_3) | instskip(SKIP_1) | instid1(VALU_DEP_4)
	v_add_co_u32 v0, s0, s4, v3
	s_wait_alu 0xf1ff
	v_add_co_ci_u32_e64 v3, s0, s5, v4, s0
	s_delay_alu instid0(VALU_DEP_2) | instskip(SKIP_1) | instid1(VALU_DEP_2)
	v_add_co_u32 v0, s0, v0, v1
	s_wait_alu 0xf1ff
	v_add_co_ci_u32_e64 v1, s0, v3, v2, s0
	s_delay_alu instid0(VALU_DEP_2) | instskip(SKIP_1) | instid1(VALU_DEP_2)
	v_add_co_u32 v0, s0, v0, v20
	s_wait_alu 0xf1ff
	v_add_co_ci_u32_e64 v1, s0, 0, v1, s0
	s_clause 0x9
	global_load_b64 v[2:3], v[0:1], off
	global_load_b64 v[4:5], v[0:1], off offset:1248
	global_load_b64 v[6:7], v[0:1], off offset:2496
	global_load_b64 v[8:9], v[0:1], off offset:3744
	global_load_b64 v[10:11], v[0:1], off offset:4992
	global_load_b64 v[12:13], v[0:1], off offset:6240
	global_load_b64 v[14:15], v[0:1], off offset:7488
	global_load_b64 v[16:17], v[0:1], off offset:8736
	global_load_b64 v[18:19], v[0:1], off offset:9984
	global_load_b64 v[0:1], v[0:1], off offset:11232
	v_add_nc_u32_e32 v20, 0, v20
	s_delay_alu instid0(VALU_DEP_1)
	v_add_nc_u32_e32 v21, 0x800, v20
	v_add_nc_u32_e32 v22, 0x1200, v20
	;; [unrolled: 1-line block ×4, first 2 shown]
	s_wait_loadcnt 0x8
	ds_store_2addr_b64 v20, v[2:3], v[4:5] offset1:156
	s_wait_loadcnt 0x6
	ds_store_2addr_b64 v21, v[6:7], v[8:9] offset0:56 offset1:212
	s_wait_loadcnt 0x4
	ds_store_2addr_b64 v22, v[10:11], v[12:13] offset0:48 offset1:204
	;; [unrolled: 2-line block ×4, first 2 shown]
.LBB0_13:
	s_or_b32 exec_lo, exec_lo, s1
	v_lshl_add_u32 v36, v26, 3, 0
	global_wb scope:SCOPE_SE
	s_wait_dscnt 0x0
	s_barrier_signal -1
	s_barrier_wait -1
	global_inv scope:SCOPE_SE
	ds_load_2addr_b64 v[0:3], v36 offset1:120
	ds_load_b64 v[34:35], v36 offset:11520
	v_add_nc_u32_e32 v4, 0x400, v36
	v_add_nc_u32_e32 v37, 0x2400, v36
	;; [unrolled: 1-line block ×4, first 2 shown]
	s_add_nc_u64 s[2:3], s[14:15], s[2:3]
	s_mov_b32 s1, exec_lo
	s_wait_dscnt 0x0
	v_add_f32_e32 v42, v35, v3
	v_dual_sub_f32 v51, v3, v35 :: v_dual_sub_f32 v54, v2, v34
	ds_load_2addr_b64 v[20:23], v4 offset0:112 offset1:232
	ds_load_2addr_b64 v[4:7], v37 offset0:48 offset1:168
	v_dual_add_f32 v39, v34, v2 :: v_dual_add_nc_u32 v38, 0x1c00, v36
	ds_load_2addr_b64 v[16:19], v8 offset0:96 offset1:216
	ds_load_2addr_b64 v[12:15], v27 offset0:80 offset1:200
	v_mul_f32_e32 v58, 0xbf52af12, v51
	v_mul_f32_e32 v62, 0xbf52af12, v54
	;; [unrolled: 1-line block ×3, first 2 shown]
	s_wait_dscnt 0x2
	v_dual_mul_f32 v71, 0xbf7e222b, v51 :: v_dual_add_f32 v40, v6, v20
	v_add_f32_e32 v41, v7, v21
	ds_load_2addr_b64 v[8:11], v38 offset0:64 offset1:184
	v_dual_sub_f32 v52, v21, v7 :: v_dual_sub_f32 v55, v20, v6
	v_dual_add_f32 v43, v4, v22 :: v_dual_fmamk_f32 v30, v39, 0x3f116cb1, v58
	v_sub_f32_e32 v53, v23, v5
	v_fma_f32 v31, 0x3f116cb1, v42, -v62
	s_delay_alu instid0(VALU_DEP_4) | instskip(SKIP_4) | instid1(VALU_DEP_3)
	v_mul_f32_e32 v65, 0xbf6f5d39, v52
	v_fmamk_f32 v32, v39, 0x3df6dbef, v71
	v_fma_f32 v33, 0x3df6dbef, v42, -v73
	v_dual_mul_f32 v77, 0xbe750f2a, v52 :: v_dual_mul_f32 v78, 0xbe750f2a, v55
	v_add_f32_e32 v30, v0, v30
	v_dual_fmamk_f32 v44, v40, 0xbeb58ec6, v65 :: v_dual_add_f32 v33, v1, v33
	v_add_f32_e32 v31, v1, v31
	v_dual_mul_f32 v67, 0xbf6f5d39, v55 :: v_dual_add_f32 v32, v0, v32
	v_mul_f32_e32 v66, 0xbe750f2a, v53
	v_fma_f32 v47, 0xbf788fa5, v41, -v78
	s_wait_dscnt 0x0
	v_sub_f32_e32 v57, v17, v11
	v_fma_f32 v45, 0xbeb58ec6, v41, -v67
	v_add_f32_e32 v30, v44, v30
	v_dual_sub_f32 v56, v22, v4 :: v_dual_add_f32 v33, v47, v33
	v_dual_fmamk_f32 v48, v43, 0xbf788fa5, v66 :: v_dual_sub_f32 v59, v16, v10
	v_fmamk_f32 v46, v40, 0xbf788fa5, v77
	v_dual_add_f32 v44, v5, v23 :: v_dual_mul_f32 v79, 0x3f6f5d39, v53
	s_delay_alu instid0(VALU_DEP_4) | instskip(NEXT) | instid1(VALU_DEP_4)
	v_dual_add_f32 v31, v45, v31 :: v_dual_mul_f32 v68, 0xbe750f2a, v56
	v_dual_add_f32 v30, v48, v30 :: v_dual_mul_f32 v81, 0x3f6f5d39, v56
	v_add_f32_e32 v45, v10, v16
	v_dual_add_f32 v32, v46, v32 :: v_dual_mul_f32 v69, 0x3f29c268, v57
	s_delay_alu instid0(VALU_DEP_4)
	v_fma_f32 v47, 0xbf788fa5, v44, -v68
	v_dual_add_f32 v46, v11, v17 :: v_dual_mul_f32 v83, 0x3eedf032, v59
	v_fma_f32 v49, 0xbeb58ec6, v44, -v81
	v_mul_f32_e32 v72, 0x3f29c268, v59
	v_dual_fmamk_f32 v48, v43, 0xbeb58ec6, v79 :: v_dual_sub_f32 v63, v18, v8
	v_add_f32_e32 v31, v47, v31
	s_delay_alu instid0(VALU_DEP_4) | instskip(NEXT) | instid1(VALU_DEP_4)
	v_add_f32_e32 v33, v49, v33
	v_fma_f32 v47, 0xbf3f9e67, v46, -v72
	v_mul_f32_e32 v80, 0x3eedf032, v57
	v_fmamk_f32 v50, v45, 0xbf3f9e67, v69
	v_mul_f32_e32 v74, 0x3f7e222b, v63
	global_wb scope:SCOPE_SE
	v_add_f32_e32 v31, v47, v31
	v_add_f32_e32 v47, v8, v18
	v_dual_add_f32 v32, v48, v32 :: v_dual_fmamk_f32 v49, v45, 0x3f62ad3f, v80
	v_add_f32_e32 v48, v9, v19
	s_barrier_signal -1
	s_barrier_wait -1
	global_inv scope:SCOPE_SE
	v_add_f32_e32 v32, v49, v32
	v_fma_f32 v49, 0x3df6dbef, v48, -v74
	s_delay_alu instid0(VALU_DEP_1) | instskip(NEXT) | instid1(VALU_DEP_1)
	v_dual_sub_f32 v60, v19, v9 :: v_dual_add_f32 v31, v49, v31
	v_mul_f32_e32 v70, 0x3f7e222b, v60
	v_add_f32_e32 v30, v50, v30
	v_fma_f32 v50, 0x3f62ad3f, v46, -v83
	v_mul_f32_e32 v82, 0xbf52af12, v60
	v_add_f32_e32 v49, v14, v12
	s_delay_alu instid0(VALU_DEP_3) | instskip(SKIP_2) | instid1(VALU_DEP_2)
	v_add_f32_e32 v33, v50, v33
	v_fmamk_f32 v61, v47, 0x3df6dbef, v70
	v_add_f32_e32 v50, v15, v13
	v_add_f32_e32 v30, v61, v30
	v_dual_sub_f32 v61, v13, v15 :: v_dual_fmamk_f32 v64, v47, 0x3f116cb1, v82
	s_delay_alu instid0(VALU_DEP_1) | instskip(SKIP_1) | instid1(VALU_DEP_1)
	v_dual_mul_f32 v75, 0x3eedf032, v61 :: v_dual_add_f32 v32, v64, v32
	v_mul_f32_e32 v84, 0xbf29c268, v61
	v_dual_sub_f32 v64, v12, v14 :: v_dual_fmamk_f32 v89, v49, 0xbf3f9e67, v84
	s_delay_alu instid0(VALU_DEP_1) | instskip(SKIP_1) | instid1(VALU_DEP_2)
	v_mul_f32_e32 v85, 0xbf29c268, v64
	v_mul_f32_e32 v76, 0x3eedf032, v64
	v_fma_f32 v90, 0xbf3f9e67, v50, -v85
	v_mul_f32_e32 v86, 0xbf52af12, v63
	s_delay_alu instid0(VALU_DEP_3) | instskip(NEXT) | instid1(VALU_DEP_2)
	v_fma_f32 v88, 0x3f62ad3f, v50, -v76
	v_fma_f32 v87, 0x3f116cb1, v48, -v86
	s_delay_alu instid0(VALU_DEP_2) | instskip(NEXT) | instid1(VALU_DEP_2)
	v_add_f32_e32 v31, v88, v31
	v_add_f32_e32 v33, v87, v33
	v_fmamk_f32 v87, v49, 0x3f62ad3f, v75
	s_delay_alu instid0(VALU_DEP_2) | instskip(NEXT) | instid1(VALU_DEP_2)
	v_dual_add_f32 v32, v89, v32 :: v_dual_add_f32 v33, v90, v33
	v_add_f32_e32 v30, v87, v30
	v_cmpx_gt_u32_e32 0x78, v26
	s_cbranch_execz .LBB0_15
; %bb.14:
	v_dual_add_f32 v3, v1, v3 :: v_dual_add_f32 v90, v0, v2
	v_mul_f32_e32 v88, 0xbe750f2a, v54
	v_mul_f32_e32 v87, 0x3eedf032, v55
	s_delay_alu instid0(VALU_DEP_3) | instskip(NEXT) | instid1(VALU_DEP_4)
	v_dual_mul_f32 v94, 0x3e750f2a, v59 :: v_dual_add_f32 v91, v3, v21
	v_add_f32_e32 v90, v90, v20
	v_mul_f32_e32 v2, 0xbf29c268, v56
	v_mul_f32_e32 v21, 0x3f52af12, v59
	s_delay_alu instid0(VALU_DEP_4) | instskip(NEXT) | instid1(VALU_DEP_4)
	v_dual_mul_f32 v98, 0x3eedf032, v60 :: v_dual_add_f32 v23, v91, v23
	v_dual_add_f32 v22, v90, v22 :: v_dual_mul_f32 v3, 0xbf6f5d39, v63
	v_mul_f32_e32 v20, 0x3eedf032, v52
	s_delay_alu instid0(VALU_DEP_3) | instskip(NEXT) | instid1(VALU_DEP_3)
	v_dual_mul_f32 v100, 0xbf6f5d39, v54 :: v_dual_add_f32 v23, v23, v17
	v_add_f32_e32 v16, v22, v16
	v_fmamk_f32 v91, v42, 0xbf788fa5, v88
	v_fmamk_f32 v92, v41, 0x3f62ad3f, v87
	v_mul_f32_e32 v102, 0x3f29c268, v55
	s_delay_alu instid0(VALU_DEP_4) | instskip(NEXT) | instid1(VALU_DEP_4)
	v_dual_add_f32 v19, v23, v19 :: v_dual_add_f32 v16, v16, v18
	v_dual_add_f32 v90, v1, v91 :: v_dual_mul_f32 v17, 0xbf29c268, v53
	v_mul_f32_e32 v89, 0xbe750f2a, v51
	s_delay_alu instid0(VALU_DEP_3) | instskip(SKIP_1) | instid1(VALU_DEP_4)
	v_add_f32_e32 v13, v19, v13
	v_fma_f32 v19, 0x3f62ad3f, v40, -v20
	v_add_f32_e32 v22, v92, v90
	v_fmamk_f32 v90, v46, 0x3f116cb1, v21
	v_fmamk_f32 v91, v44, 0xbf3f9e67, v2
	v_fma_f32 v23, 0xbf788fa5, v39, -v89
	v_dual_add_f32 v13, v13, v15 :: v_dual_mul_f32 v92, 0xbf52af12, v56
	s_delay_alu instid0(VALU_DEP_3) | instskip(NEXT) | instid1(VALU_DEP_2)
	v_dual_mul_f32 v95, 0xbf52af12, v53 :: v_dual_add_f32 v18, v91, v22
	v_dual_add_f32 v22, v0, v23 :: v_dual_add_f32 v13, v13, v9
	v_add_f32_e32 v12, v16, v12
	v_fmamk_f32 v16, v48, 0xbeb58ec6, v3
	s_delay_alu instid0(VALU_DEP_4) | instskip(NEXT) | instid1(VALU_DEP_4)
	v_add_f32_e32 v18, v90, v18
	v_add_f32_e32 v19, v19, v22
	s_delay_alu instid0(VALU_DEP_4) | instskip(SKIP_1) | instid1(VALU_DEP_4)
	v_dual_add_f32 v11, v13, v11 :: v_dual_add_f32 v14, v12, v14
	v_fma_f32 v23, 0xbf3f9e67, v43, -v17
	v_dual_mul_f32 v12, 0x3f52af12, v57 :: v_dual_add_f32 v15, v16, v18
	s_delay_alu instid0(VALU_DEP_3) | instskip(SKIP_3) | instid1(VALU_DEP_4)
	v_dual_add_f32 v5, v11, v5 :: v_dual_add_f32 v14, v14, v8
	v_mul_f32_e32 v11, 0x3f7e222b, v55
	v_mul_f32_e32 v8, 0xbf6f5d39, v60
	v_dual_add_f32 v16, v23, v19 :: v_dual_mul_f32 v9, 0xbf29c268, v54
	v_add_f32_e32 v13, v14, v10
	v_fma_f32 v18, 0x3f116cb1, v45, -v12
	v_dual_mul_f32 v22, 0x3f7e222b, v61 :: v_dual_mul_f32 v93, 0x3f7e222b, v52
	v_add_f32_e32 v23, v5, v7
	s_delay_alu instid0(VALU_DEP_4) | instskip(NEXT) | instid1(VALU_DEP_4)
	v_add_f32_e32 v4, v13, v4
	v_add_f32_e32 v14, v18, v16
	v_fma_f32 v16, 0xbeb58ec6, v47, -v8
	v_fmamk_f32 v18, v42, 0xbf3f9e67, v9
	v_mul_f32_e32 v99, 0xbf6f5d39, v64
	v_dual_add_f32 v91, v4, v6 :: v_dual_mul_f32 v10, 0x3f7e222b, v64
	s_delay_alu instid0(VALU_DEP_4) | instskip(NEXT) | instid1(VALU_DEP_4)
	v_add_f32_e32 v14, v16, v14
	v_add_f32_e32 v13, v1, v18
	v_fma_f32 v16, 0x3df6dbef, v49, -v22
	v_dual_mul_f32 v109, 0x3e750f2a, v63 :: v_dual_mul_f32 v110, 0x3e750f2a, v60
	v_fmamk_f32 v5, v50, 0x3df6dbef, v10
	v_mul_f32_e32 v96, 0x3e750f2a, v57
	v_mul_f32_e32 v106, 0x3eedf032, v53
	;; [unrolled: 1-line block ×3, first 2 shown]
	v_fma_f32 v19, 0xbf788fa5, v47, -v110
	v_add_f32_e32 v5, v5, v15
	v_fmamk_f32 v15, v50, 0xbeb58ec6, v99
	v_fmamk_f32 v4, v41, 0x3df6dbef, v11
	v_mul_f32_e32 v54, 0xbeedf032, v54
	v_mul_f32_e32 v55, 0xbf52af12, v55
	;; [unrolled: 1-line block ×3, first 2 shown]
	v_fma_f32 v10, 0x3df6dbef, v50, -v10
	v_add_f32_e32 v4, v4, v13
	v_fma_f32 v13, 0x3df6dbef, v40, -v93
	v_fmamk_f32 v7, v44, 0x3f116cb1, v92
	v_fmac_f32_e32 v20, 0x3f62ad3f, v40
	v_mul_f32_e32 v101, 0xbf6f5d39, v51
	v_fma_f32 v2, 0xbf3f9e67, v44, -v2
	v_fma_f32 v21, 0x3f116cb1, v46, -v21
	v_dual_add_f32 v4, v7, v4 :: v_dual_fmamk_f32 v7, v46, 0xbf788fa5, v94
	v_fmac_f32_e32 v12, 0x3f116cb1, v45
	v_fma_f32 v11, 0x3df6dbef, v41, -v11
	v_fmac_f32_e32 v110, 0xbf788fa5, v47
	s_delay_alu instid0(VALU_DEP_4)
	v_dual_mul_f32 v97, 0x3eedf032, v63 :: v_dual_add_f32 v4, v7, v4
	v_mul_f32_e32 v90, 0xbf29c268, v51
	v_fma_f32 v7, 0xbf788fa5, v45, -v96
	v_mul_f32_e32 v103, 0xbf6f5d39, v61
	v_fmac_f32_e32 v8, 0xbeb58ec6, v47
	v_mul_f32_e32 v111, 0xbf788fa5, v40
	v_fma_f32 v6, 0xbf3f9e67, v39, -v90
	v_mul_f32_e32 v57, 0xbf6f5d39, v57
	v_fma_f32 v18, 0xbeb58ec6, v49, -v103
	v_fmac_f32_e32 v103, 0xbeb58ec6, v49
	s_delay_alu instid0(VALU_DEP_4) | instskip(SKIP_2) | instid1(VALU_DEP_3)
	v_dual_fmac_f32 v89, 0xbf788fa5, v39 :: v_dual_add_f32 v6, v0, v6
	v_mul_f32_e32 v63, 0xbf29c268, v63
	v_fmac_f32_e32 v17, 0xbf3f9e67, v43
	v_dual_fmac_f32 v93, 0x3df6dbef, v40 :: v_dual_add_f32 v6, v13, v6
	v_fma_f32 v13, 0x3f116cb1, v43, -v95
	s_delay_alu instid0(VALU_DEP_1) | instskip(NEXT) | instid1(VALU_DEP_1)
	v_dual_fmac_f32 v95, 0x3f116cb1, v43 :: v_dual_add_f32 v6, v13, v6
	v_dual_fmamk_f32 v13, v48, 0x3f62ad3f, v97 :: v_dual_add_f32 v6, v7, v6
	v_fma_f32 v7, 0x3f62ad3f, v47, -v98
	s_delay_alu instid0(VALU_DEP_2) | instskip(SKIP_1) | instid1(VALU_DEP_3)
	v_dual_add_f32 v13, v13, v4 :: v_dual_add_f32 v4, v16, v14
	v_fma_f32 v14, 0xbeb58ec6, v39, -v101
	v_dual_mul_f32 v105, 0x3eedf032, v56 :: v_dual_add_f32 v6, v7, v6
	s_delay_alu instid0(VALU_DEP_3) | instskip(SKIP_1) | instid1(VALU_DEP_4)
	v_add_f32_e32 v7, v15, v13
	v_fmamk_f32 v15, v41, 0xbf3f9e67, v102
	v_dual_fmamk_f32 v13, v42, 0xbeb58ec6, v100 :: v_dual_add_f32 v14, v0, v14
	s_delay_alu instid0(VALU_DEP_4) | instskip(SKIP_1) | instid1(VALU_DEP_3)
	v_dual_mul_f32 v107, 0xbf7e222b, v59 :: v_dual_add_f32 v6, v18, v6
	v_mul_f32_e32 v18, 0xbf788fa5, v41
	v_dual_add_f32 v13, v1, v13 :: v_dual_mul_f32 v56, 0xbf7e222b, v56
	v_fmac_f32_e32 v101, 0xbeb58ec6, v39
	s_delay_alu instid0(VALU_DEP_2) | instskip(SKIP_1) | instid1(VALU_DEP_1)
	v_add_f32_e32 v13, v15, v13
	v_dual_fmamk_f32 v15, v44, 0x3f62ad3f, v105 :: v_dual_fmac_f32 v98, 0x3f62ad3f, v47
	v_add_f32_e32 v13, v15, v13
	v_fmamk_f32 v15, v46, 0x3df6dbef, v107
	s_delay_alu instid0(VALU_DEP_1) | instskip(SKIP_2) | instid1(VALU_DEP_2)
	v_add_f32_e32 v13, v15, v13
	v_fmamk_f32 v15, v48, 0xbf788fa5, v109
	v_mul_f32_e32 v104, 0x3f29c268, v52
	v_dual_mul_f32 v52, 0xbf52af12, v52 :: v_dual_add_f32 v13, v15, v13
	s_delay_alu instid0(VALU_DEP_2) | instskip(SKIP_1) | instid1(VALU_DEP_2)
	v_fma_f32 v16, 0xbf3f9e67, v40, -v104
	v_fmac_f32_e32 v104, 0xbf3f9e67, v40
	v_add_f32_e32 v14, v16, v14
	v_fma_f32 v16, 0x3f62ad3f, v43, -v106
	s_delay_alu instid0(VALU_DEP_1) | instskip(SKIP_1) | instid1(VALU_DEP_1)
	v_add_f32_e32 v14, v16, v14
	v_fma_f32 v16, 0x3df6dbef, v45, -v108
	v_add_f32_e32 v14, v16, v14
	v_mul_f32_e32 v16, 0x3df6dbef, v42
	s_delay_alu instid0(VALU_DEP_1) | instskip(NEXT) | instid1(VALU_DEP_3)
	v_add_f32_e32 v15, v73, v16
	v_dual_mul_f32 v73, 0x3f52af12, v64 :: v_dual_add_f32 v16, v19, v14
	v_dual_mul_f32 v19, 0xbeb58ec6, v44 :: v_dual_add_f32 v14, v78, v18
	v_mul_f32_e32 v18, 0x3df6dbef, v39
	s_delay_alu instid0(VALU_DEP_4)
	v_add_f32_e32 v15, v1, v15
	v_fmac_f32_e32 v106, 0x3f62ad3f, v43
	v_fmac_f32_e32 v108, 0x3df6dbef, v45
	;; [unrolled: 1-line block ×3, first 2 shown]
	v_sub_f32_e32 v18, v18, v71
	v_add_f32_e32 v14, v14, v15
	v_add_f32_e32 v15, v81, v19
	v_mul_f32_e32 v19, 0x3f62ad3f, v46
	v_sub_f32_e32 v71, v111, v77
	v_dual_mul_f32 v77, 0x3f52af12, v61 :: v_dual_add_f32 v18, v0, v18
	v_mul_f32_e32 v81, 0xbeb58ec6, v43
	v_fmamk_f32 v78, v50, 0x3f116cb1, v73
	v_add_f32_e32 v14, v15, v14
	v_add_f32_e32 v15, v83, v19
	v_dual_mul_f32 v19, 0x3f116cb1, v48 :: v_dual_add_f32 v18, v71, v18
	v_sub_f32_e32 v71, v81, v79
	v_mul_f32_e32 v79, 0x3f62ad3f, v45
	v_fma_f32 v81, 0x3f116cb1, v49, -v77
	v_dual_add_f32 v15, v15, v14 :: v_dual_add_f32 v14, v78, v13
	s_delay_alu instid0(VALU_DEP_4) | instskip(NEXT) | instid1(VALU_DEP_4)
	v_add_f32_e32 v18, v71, v18
	v_sub_f32_e32 v71, v79, v80
	s_delay_alu instid0(VALU_DEP_4) | instskip(SKIP_1) | instid1(VALU_DEP_3)
	v_dual_add_f32 v13, v81, v16 :: v_dual_mul_f32 v16, 0x3f116cb1, v47
	v_dual_add_f32 v19, v86, v19 :: v_dual_mul_f32 v78, 0xbf3f9e67, v49
	v_add_f32_e32 v18, v71, v18
	v_mul_f32_e32 v71, 0x3f116cb1, v42
	s_delay_alu instid0(VALU_DEP_3) | instskip(SKIP_1) | instid1(VALU_DEP_3)
	v_dual_sub_f32 v16, v16, v82 :: v_dual_add_f32 v15, v19, v15
	v_mul_f32_e32 v19, 0xbf3f9e67, v50
	v_dual_mul_f32 v79, 0xbeb58ec6, v41 :: v_dual_add_f32 v62, v62, v71
	s_delay_alu instid0(VALU_DEP_3) | instskip(SKIP_1) | instid1(VALU_DEP_3)
	v_dual_add_f32 v18, v16, v18 :: v_dual_sub_f32 v71, v78, v84
	v_mul_f32_e32 v78, 0x3f116cb1, v39
	v_dual_add_f32 v67, v67, v79 :: v_dual_add_f32 v62, v1, v62
	v_add_f32_e32 v19, v85, v19
	v_mul_f32_e32 v79, 0xbf788fa5, v44
	v_mul_f32_e32 v61, 0xbe750f2a, v61
	s_delay_alu instid0(VALU_DEP_3)
	v_dual_fmac_f32 v77, 0x3f116cb1, v49 :: v_dual_add_f32 v16, v19, v15
	v_mul_f32_e32 v15, 0xbeb58ec6, v40
	v_sub_f32_e32 v19, v78, v58
	v_add_f32_e32 v58, v67, v62
	v_dual_add_f32 v62, v68, v79 :: v_dual_mul_f32 v67, 0xbf3f9e67, v46
	v_fma_f32 v68, 0x3f62ad3f, v41, -v87
	s_delay_alu instid0(VALU_DEP_2) | instskip(SKIP_1) | instid1(VALU_DEP_1)
	v_dual_add_f32 v58, v62, v58 :: v_dual_sub_f32 v15, v15, v65
	v_mul_f32_e32 v65, 0xbf788fa5, v43
	v_dual_sub_f32 v65, v65, v66 :: v_dual_mul_f32 v66, 0xbf3f9e67, v45
	v_dual_add_f32 v62, v72, v67 :: v_dual_mul_f32 v67, 0x3df6dbef, v48
	s_delay_alu instid0(VALU_DEP_1) | instskip(NEXT) | instid1(VALU_DEP_2)
	v_add_f32_e32 v58, v62, v58
	v_add_f32_e32 v62, v74, v67
	;; [unrolled: 1-line block ×3, first 2 shown]
	s_delay_alu instid0(VALU_DEP_2) | instskip(NEXT) | instid1(VALU_DEP_2)
	v_dual_fmamk_f32 v67, v41, 0x3f116cb1, v55 :: v_dual_add_f32 v58, v62, v58
	v_dual_add_f32 v19, v15, v19 :: v_dual_mul_f32 v62, 0x3f62ad3f, v50
	s_delay_alu instid0(VALU_DEP_1) | instskip(NEXT) | instid1(VALU_DEP_2)
	v_dual_add_f32 v15, v71, v18 :: v_dual_add_f32 v18, v65, v19
	v_dual_sub_f32 v19, v66, v69 :: v_dual_add_f32 v62, v76, v62
	s_delay_alu instid0(VALU_DEP_1) | instskip(NEXT) | instid1(VALU_DEP_1)
	v_dual_add_f32 v18, v19, v18 :: v_dual_mul_f32 v65, 0x3df6dbef, v47
	v_sub_f32_e32 v19, v65, v70
	s_delay_alu instid0(VALU_DEP_1) | instskip(NEXT) | instid1(VALU_DEP_1)
	v_dual_mul_f32 v65, 0x3f62ad3f, v49 :: v_dual_add_f32 v18, v19, v18
	v_dual_sub_f32 v65, v65, v75 :: v_dual_fmamk_f32 v66, v42, 0x3f62ad3f, v54
	v_add_f32_e32 v19, v62, v58
	s_delay_alu instid0(VALU_DEP_2) | instskip(NEXT) | instid1(VALU_DEP_3)
	v_dual_mul_f32 v53, 0xbf7e222b, v53 :: v_dual_add_f32 v18, v65, v18
	v_dual_add_f32 v66, v1, v66 :: v_dual_mul_f32 v51, 0xbeedf032, v51
	s_delay_alu instid0(VALU_DEP_2) | instskip(SKIP_1) | instid1(VALU_DEP_3)
	v_fma_f32 v65, 0x3df6dbef, v43, -v53
	v_dual_fmac_f32 v22, 0x3df6dbef, v49 :: v_dual_fmac_f32 v53, 0x3df6dbef, v43
	v_add_f32_e32 v62, v67, v66
	s_delay_alu instid0(VALU_DEP_4) | instskip(SKIP_3) | instid1(VALU_DEP_4)
	v_fma_f32 v58, 0x3f62ad3f, v39, -v51
	v_fma_f32 v67, 0x3f116cb1, v40, -v52
	v_fmamk_f32 v66, v44, 0x3df6dbef, v56
	v_mul_f32_e32 v59, 0xbf6f5d39, v59
	v_dual_fmac_f32 v51, 0x3f62ad3f, v39 :: v_dual_add_f32 v58, v0, v58
	v_fmac_f32_e32 v52, 0x3f116cb1, v40
	s_delay_alu instid0(VALU_DEP_4) | instskip(NEXT) | instid1(VALU_DEP_4)
	v_add_f32_e32 v62, v66, v62
	v_fmamk_f32 v66, v46, 0xbeb58ec6, v59
	s_delay_alu instid0(VALU_DEP_4) | instskip(NEXT) | instid1(VALU_DEP_1)
	v_dual_add_f32 v58, v67, v58 :: v_dual_fmamk_f32 v67, v48, 0xbf3f9e67, v63
	v_add_f32_e32 v58, v65, v58
	v_fma_f32 v65, 0xbeb58ec6, v45, -v57
	s_delay_alu instid0(VALU_DEP_1) | instskip(SKIP_1) | instid1(VALU_DEP_1)
	v_dual_fmac_f32 v57, 0xbeb58ec6, v45 :: v_dual_add_f32 v58, v65, v58
	v_fma_f32 v65, 0xbf3f9e67, v47, -v60
	v_dual_add_f32 v58, v65, v58 :: v_dual_add_f32 v65, v0, v89
	v_add_f32_e32 v62, v66, v62
	v_fma_f32 v66, 0xbf788fa5, v42, -v88
	s_delay_alu instid0(VALU_DEP_3) | instskip(NEXT) | instid1(VALU_DEP_3)
	v_add_f32_e32 v20, v20, v65
	v_add_f32_e32 v62, v67, v62
	s_delay_alu instid0(VALU_DEP_3) | instskip(SKIP_2) | instid1(VALU_DEP_3)
	v_add_f32_e32 v66, v1, v66
	v_fma_f32 v65, 0xbf788fa5, v49, -v61
	v_fmac_f32_e32 v61, 0xbf788fa5, v49
	v_dual_add_f32 v17, v17, v20 :: v_dual_add_f32 v66, v68, v66
	s_delay_alu instid0(VALU_DEP_1) | instskip(SKIP_1) | instid1(VALU_DEP_3)
	v_add_f32_e32 v12, v12, v17
	v_fma_f32 v17, 0xbf3f9e67, v42, -v9
	v_add_f32_e32 v2, v2, v66
	s_delay_alu instid0(VALU_DEP_3) | instskip(NEXT) | instid1(VALU_DEP_2)
	v_add_f32_e32 v8, v8, v12
	v_add_f32_e32 v2, v21, v2
	v_mul_f32_e32 v64, 0xbe750f2a, v64
	s_delay_alu instid0(VALU_DEP_1) | instskip(NEXT) | instid1(VALU_DEP_1)
	v_fmamk_f32 v66, v50, 0xbf788fa5, v64
	v_add_f32_e32 v21, v66, v62
	v_fma_f32 v62, 0xbeb58ec6, v48, -v3
	v_add_f32_e32 v3, v23, v35
	s_delay_alu instid0(VALU_DEP_2) | instskip(SKIP_2) | instid1(VALU_DEP_3)
	v_dual_fmac_f32 v60, 0xbf3f9e67, v47 :: v_dual_add_f32 v23, v62, v2
	v_add_f32_e32 v2, v91, v34
	v_fma_f32 v34, 0xbf788fa5, v50, -v64
	v_dual_add_f32 v9, v10, v23 :: v_dual_add_f32 v10, v1, v17
	v_fma_f32 v17, 0xbeb58ec6, v42, -v100
	v_fma_f32 v23, 0xbf3f9e67, v41, -v102
	s_delay_alu instid0(VALU_DEP_2) | instskip(SKIP_1) | instid1(VALU_DEP_2)
	v_dual_add_f32 v10, v11, v10 :: v_dual_add_f32 v17, v1, v17
	v_fma_f32 v11, 0x3f116cb1, v44, -v92
	v_add_f32_e32 v17, v23, v17
	v_fma_f32 v23, 0x3f62ad3f, v44, -v105
	v_add_f32_e32 v20, v65, v58
	s_delay_alu instid0(VALU_DEP_4) | instskip(SKIP_1) | instid1(VALU_DEP_4)
	v_add_f32_e32 v10, v11, v10
	v_fma_f32 v11, 0xbf788fa5, v46, -v94
	v_add_f32_e32 v17, v23, v17
	v_fma_f32 v23, 0x3df6dbef, v46, -v107
	v_fmac_f32_e32 v90, 0xbf3f9e67, v39
	s_delay_alu instid0(VALU_DEP_4) | instskip(SKIP_2) | instid1(VALU_DEP_4)
	v_add_f32_e32 v10, v11, v10
	v_fma_f32 v11, 0x3f62ad3f, v48, -v97
	v_mad_u32_u24 v39, 0x60, v26, v36
	v_dual_add_f32 v17, v23, v17 :: v_dual_add_f32 v12, v0, v90
	v_fma_f32 v23, 0xbf788fa5, v48, -v109
	s_delay_alu instid0(VALU_DEP_4) | instskip(SKIP_1) | instid1(VALU_DEP_1)
	v_add_f32_e32 v10, v11, v10
	v_fma_f32 v11, 0xbeb58ec6, v50, -v99
	v_dual_add_f32 v12, v93, v12 :: v_dual_add_f32 v11, v11, v10
	s_delay_alu instid0(VALU_DEP_1) | instskip(NEXT) | instid1(VALU_DEP_1)
	v_add_f32_e32 v12, v95, v12
	v_add_f32_e32 v12, v96, v12
	s_delay_alu instid0(VALU_DEP_1) | instskip(NEXT) | instid1(VALU_DEP_1)
	v_add_f32_e32 v12, v98, v12
	v_add_f32_e32 v10, v103, v12
	;; [unrolled: 1-line block ×3, first 2 shown]
	v_fma_f32 v17, 0x3f62ad3f, v42, -v54
	v_add_f32_e32 v23, v0, v101
	s_delay_alu instid0(VALU_DEP_2) | instskip(SKIP_4) | instid1(VALU_DEP_3)
	v_dual_add_f32 v1, v1, v17 :: v_dual_add_f32 v8, v22, v8
	v_fma_f32 v22, 0x3f116cb1, v50, -v73
	v_fma_f32 v17, 0x3f116cb1, v41, -v55
	v_add_f32_e32 v0, v0, v51
	v_add_f32_e32 v23, v104, v23
	;; [unrolled: 1-line block ×3, first 2 shown]
	v_fma_f32 v17, 0x3df6dbef, v44, -v56
	s_delay_alu instid0(VALU_DEP_3) | instskip(NEXT) | instid1(VALU_DEP_2)
	v_dual_add_f32 v0, v52, v0 :: v_dual_add_f32 v23, v106, v23
	v_add_f32_e32 v1, v17, v1
	v_fma_f32 v17, 0xbeb58ec6, v46, -v59
	s_delay_alu instid0(VALU_DEP_3) | instskip(NEXT) | instid1(VALU_DEP_2)
	v_dual_add_f32 v0, v53, v0 :: v_dual_add_f32 v23, v108, v23
	v_add_f32_e32 v1, v17, v1
	;; [unrolled: 4-line block ×3, first 2 shown]
	s_delay_alu instid0(VALU_DEP_2) | instskip(NEXT) | instid1(VALU_DEP_3)
	v_add_f32_e32 v35, v60, v0
	v_dual_add_f32 v1, v22, v12 :: v_dual_add_f32 v0, v77, v23
	s_delay_alu instid0(VALU_DEP_2)
	v_dual_add_f32 v23, v34, v17 :: v_dual_add_f32 v22, v61, v35
	ds_store_2addr_b64 v39, v[2:3], v[20:21] offset1:1
	ds_store_2addr_b64 v39, v[18:19], v[15:16] offset0:2 offset1:3
	ds_store_2addr_b64 v39, v[13:14], v[6:7] offset0:4 offset1:5
	;; [unrolled: 1-line block ×5, first 2 shown]
	ds_store_b64 v39, v[22:23] offset:96
.LBB0_15:
	s_wait_alu 0xfffe
	s_or_b32 exec_lo, exec_lo, s1
	v_and_b32_e32 v0, 0xff, v26
	v_add_nc_u32_e32 v34, 0x9c, v26
	v_add_nc_u32_e32 v23, 0x138, v26
	;; [unrolled: 1-line block ×3, first 2 shown]
	s_load_b64 s[2:3], s[2:3], 0x0
	v_mul_lo_u16 v35, 0x4f, v0
	v_and_b32_e32 v0, 0xffff, v34
	v_and_b32_e32 v1, 0xffff, v23
	global_wb scope:SCOPE_SE
	s_wait_dscnt 0x0
	s_wait_kmcnt 0x0
	s_barrier_signal -1
	v_lshrrev_b16 v50, 10, v35
	v_mul_u32_u24_e32 v51, 0x4ec5, v0
	v_and_b32_e32 v0, 0xffff, v49
	v_mul_u32_u24_e32 v52, 0x4ec5, v1
	s_barrier_wait -1
	v_mul_lo_u16 v1, v50, 13
	v_lshrrev_b32_e32 v54, 18, v51
	v_mul_u32_u24_e32 v55, 0x4ec5, v0
	global_inv scope:SCOPE_SE
	v_lshrrev_b32_e32 v56, 18, v52
	v_sub_nc_u16 v0, v26, v1
	v_mul_lo_u16 v1, v54, 13
	v_lshrrev_b32_e32 v58, 18, v55
	v_lshrrev_b16 v64, 11, v35
	v_lshrrev_b32_e32 v51, 19, v51
	v_and_b32_e32 v0, 0xff, v0
	v_sub_nc_u16 v1, v34, v1
	v_mul_lo_u16 v4, v58, 13
	v_mul_u32_u24_e32 v54, 0xd0, v54
	v_mul_lo_u16 v65, v64, 26
	v_lshlrev_b32_e32 v59, 3, v0
	v_and_b32_e32 v1, 0xffff, v1
	v_lshrrev_b32_e32 v52, 19, v52
	v_mul_lo_u16 v66, v51, 26
	v_lshrrev_b32_e32 v55, 19, v55
	global_load_b64 v[39:40], v59, s[8:9]
	v_lshlrev_b32_e32 v60, 3, v1
	v_sub_nc_u16 v65, v26, v65
	v_mul_lo_u16 v67, v52, 26
	v_and_b32_e32 v50, 0xffff, v50
	v_mul_lo_u16 v69, v55, 26
	global_load_b64 v[41:42], v60, s[8:9]
	v_add_nc_u32_e32 v22, 0x1d4, v26
	v_add3_u32 v54, 0, v54, v60
	v_mul_u32_u24_e32 v50, 0xd0, v50
	v_mul_u32_u24_e32 v58, 0xd0, v58
	v_lshrrev_b16 v35, 12, v35
	v_and_b32_e32 v2, 0xffff, v22
	v_cmp_gt_u32_e64 s0, 52, v26
	s_delay_alu instid0(VALU_DEP_2) | instskip(SKIP_2) | instid1(VALU_DEP_3)
	v_mul_u32_u24_e32 v53, 0x4ec5, v2
	v_mul_lo_u16 v2, v56, 13
	v_mul_u32_u24_e32 v56, 0xd0, v56
	v_lshrrev_b32_e32 v57, 18, v53
	s_delay_alu instid0(VALU_DEP_3) | instskip(SKIP_1) | instid1(VALU_DEP_3)
	v_sub_nc_u16 v2, v23, v2
	v_lshrrev_b32_e32 v53, 19, v53
	v_mul_lo_u16 v3, v57, 13
	s_delay_alu instid0(VALU_DEP_3) | instskip(NEXT) | instid1(VALU_DEP_3)
	v_and_b32_e32 v2, 0xffff, v2
	v_mul_lo_u16 v68, v53, 26
	v_mul_u32_u24_e32 v57, 0xd0, v57
	s_delay_alu instid0(VALU_DEP_4) | instskip(SKIP_2) | instid1(VALU_DEP_3)
	v_sub_nc_u16 v0, v22, v3
	v_sub_nc_u16 v3, v49, v4
	v_lshlrev_b32_e32 v61, 3, v2
	v_and_b32_e32 v0, 0xffff, v0
	s_delay_alu instid0(VALU_DEP_3) | instskip(NEXT) | instid1(VALU_DEP_2)
	v_and_b32_e32 v1, 0xffff, v3
	v_lshlrev_b32_e32 v62, 3, v0
	s_delay_alu instid0(VALU_DEP_2)
	v_lshlrev_b32_e32 v63, 3, v1
	s_clause 0x2
	global_load_b64 v[43:44], v61, s[8:9]
	global_load_b64 v[45:46], v62, s[8:9]
	;; [unrolled: 1-line block ×3, first 2 shown]
	v_add_nc_u32_e32 v0, 0x1200, v36
	ds_load_2addr_b64 v[6:9], v38 offset0:40 offset1:196
	v_add_nc_u32_e32 v1, 0x800, v36
	ds_load_2addr_b64 v[2:5], v36 offset1:156
	ds_load_2addr_b64 v[10:13], v37 offset0:96 offset1:252
	ds_load_2addr_b64 v[14:17], v0 offset0:48 offset1:204
	;; [unrolled: 1-line block ×3, first 2 shown]
	v_add3_u32 v57, 0, v57, v62
	global_wb scope:SCOPE_SE
	s_wait_loadcnt_dscnt 0x0
	s_barrier_signal -1
	s_barrier_wait -1
	global_inv scope:SCOPE_SE
	v_mul_f32_e32 v60, v40, v17
	v_mul_f32_e32 v40, v40, v16
	v_sub_nc_u16 v67, v23, v67
	v_sub_nc_u16 v49, v49, v69
	s_delay_alu instid0(VALU_DEP_4) | instskip(NEXT) | instid1(VALU_DEP_4)
	v_fma_f32 v16, v39, v16, -v60
	v_dual_fmac_f32 v40, v39, v17 :: v_dual_mul_f32 v17, v42, v7
	v_mul_f32_e32 v39, v42, v6
	v_and_b32_e32 v65, 0xff, v65
	s_delay_alu instid0(VALU_DEP_3) | instskip(NEXT) | instid1(VALU_DEP_3)
	v_fma_f32 v17, v41, v6, -v17
	v_dual_sub_f32 v6, v2, v16 :: v_dual_fmac_f32 v39, v41, v7
	v_sub_nc_u16 v68, v22, v68
	v_sub_f32_e32 v7, v3, v40
	s_delay_alu instid0(VALU_DEP_3) | instskip(NEXT) | instid1(VALU_DEP_3)
	v_fma_f32 v2, v2, 2.0, -v6
	v_and_b32_e32 v68, 0xffff, v68
	s_delay_alu instid0(VALU_DEP_3)
	v_fma_f32 v3, v3, 2.0, -v7
	v_mul_f32_e32 v42, v44, v9
	v_mul_f32_e32 v60, v46, v11
	v_add3_u32 v56, 0, v56, v61
	v_mul_f32_e32 v61, v48, v13
	v_sub_nc_u16 v66, v34, v66
	v_mul_f32_e32 v44, v44, v8
	v_mul_f32_e32 v46, v46, v10
	;; [unrolled: 1-line block ×3, first 2 shown]
	v_fma_f32 v41, v43, v8, -v42
	v_and_b32_e32 v66, 0xffff, v66
	v_fmac_f32_e32 v44, v43, v9
	v_dual_fmac_f32 v46, v45, v11 :: v_dual_lshlrev_b32 v65, 3, v65
	v_fma_f32 v42, v45, v10, -v60
	v_dual_fmac_f32 v48, v47, v13 :: v_dual_and_b32 v67, 0xffff, v67
	v_fma_f32 v16, v47, v12, -v61
	v_add3_u32 v50, 0, v50, v59
	v_dual_sub_f32 v8, v4, v17 :: v_dual_lshlrev_b32 v59, 3, v66
	v_dual_sub_f32 v9, v5, v39 :: v_dual_sub_f32 v10, v18, v41
	v_sub_f32_e32 v11, v19, v44
	v_dual_sub_f32 v12, v20, v42 :: v_dual_and_b32 v49, 0xffff, v49
	v_dual_sub_f32 v13, v21, v46 :: v_dual_sub_f32 v16, v14, v16
	v_sub_f32_e32 v17, v15, v48
	v_fma_f32 v4, v4, 2.0, -v8
	v_fma_f32 v5, v5, 2.0, -v9
	;; [unrolled: 1-line block ×6, first 2 shown]
	v_lshlrev_b32_e32 v66, 3, v67
	v_add3_u32 v58, 0, v58, v63
	v_fma_f32 v14, v14, 2.0, -v16
	v_fma_f32 v15, v15, 2.0, -v17
	ds_store_2addr_b64 v50, v[2:3], v[6:7] offset1:13
	ds_store_2addr_b64 v54, v[4:5], v[8:9] offset1:13
	;; [unrolled: 1-line block ×5, first 2 shown]
	v_lshlrev_b32_e32 v14, 3, v68
	v_lshlrev_b32_e32 v15, 3, v49
	global_wb scope:SCOPE_SE
	s_wait_dscnt 0x0
	s_barrier_signal -1
	s_barrier_wait -1
	global_inv scope:SCOPE_SE
	s_clause 0x4
	global_load_b64 v[39:40], v65, s[8:9] offset:104
	global_load_b64 v[41:42], v59, s[8:9] offset:104
	;; [unrolled: 1-line block ×5, first 2 shown]
	v_mul_lo_u16 v2, v35, 52
	v_and_b32_e32 v3, 0xffff, v64
	ds_load_2addr_b64 v[10:13], v37 offset0:96 offset1:252
	ds_load_2addr_b64 v[6:9], v38 offset0:40 offset1:196
	v_mul_u32_u24_e32 v17, 0x1a0, v51
	v_sub_nc_u16 v2, v26, v2
	v_mul_u32_u24_e32 v16, 0x1a0, v3
	v_mul_u32_u24_e32 v18, 0x1a0, v52
	;; [unrolled: 1-line block ×4, first 2 shown]
	v_and_b32_e32 v49, 0xff, v2
	ds_load_2addr_b64 v[2:5], v0 offset0:48 offset1:204
	v_add3_u32 v50, 0, v16, v65
	v_add3_u32 v52, 0, v17, v59
	;; [unrolled: 1-line block ×4, first 2 shown]
	v_and_b32_e32 v35, 0xffff, v35
	s_delay_alu instid0(VALU_DEP_1)
	v_mul_u32_u24_e32 v35, 0x1040, v35
	s_wait_loadcnt_dscnt 0x400
	v_mul_f32_e32 v56, v40, v5
	v_mul_u32_u24_e32 v19, 9, v49
	s_wait_loadcnt 0x0
	v_mul_f32_e32 v60, v48, v13
	v_mul_f32_e32 v48, v48, v12
	v_dual_mul_f32 v40, v40, v4 :: v_dual_mul_f32 v57, v42, v7
	v_dual_mul_f32 v42, v42, v6 :: v_dual_lshlrev_b32 v51, 3, v19
	s_delay_alu instid0(VALU_DEP_3) | instskip(SKIP_2) | instid1(VALU_DEP_3)
	v_fmac_f32_e32 v48, v47, v13
	v_mul_f32_e32 v58, v44, v9
	v_dual_mul_f32 v44, v44, v8 :: v_dual_mul_f32 v59, v46, v11
	v_dual_mul_f32 v46, v46, v10 :: v_dual_sub_f32 v13, v3, v48
	v_add3_u32 v53, 0, v18, v66
	ds_load_2addr_b64 v[14:17], v36 offset1:156
	ds_load_2addr_b64 v[18:21], v1 offset0:56 offset1:212
	v_fma_f32 v4, v39, v4, -v56
	v_fmac_f32_e32 v40, v39, v5
	v_fma_f32 v6, v41, v6, -v57
	v_fmac_f32_e32 v42, v41, v7
	v_fma_f32 v8, v43, v8, -v58
	v_fmac_f32_e32 v44, v43, v9
	v_fma_f32 v10, v45, v10, -v59
	v_fmac_f32_e32 v46, v45, v11
	v_fma_f32 v12, v47, v12, -v60
	v_fma_f32 v3, v3, 2.0, -v13
	global_wb scope:SCOPE_SE
	s_wait_dscnt 0x0
	s_barrier_signal -1
	s_barrier_wait -1
	v_sub_f32_e32 v12, v2, v12
	global_inv scope:SCOPE_SE
	v_sub_f32_e32 v4, v14, v4
	v_dual_sub_f32 v5, v15, v40 :: v_dual_sub_f32 v6, v16, v6
	v_dual_sub_f32 v7, v17, v42 :: v_dual_sub_f32 v8, v18, v8
	;; [unrolled: 1-line block ×3, first 2 shown]
	v_sub_f32_e32 v11, v21, v46
	v_fma_f32 v14, v14, 2.0, -v4
	v_fma_f32 v15, v15, 2.0, -v5
	v_fma_f32 v16, v16, 2.0, -v6
	v_fma_f32 v17, v17, 2.0, -v7
	v_fma_f32 v18, v18, 2.0, -v8
	v_fma_f32 v19, v19, 2.0, -v9
	v_fma_f32 v20, v20, 2.0, -v10
	v_fma_f32 v21, v21, 2.0, -v11
	v_fma_f32 v2, v2, 2.0, -v12
	ds_store_2addr_b64 v50, v[14:15], v[4:5] offset1:26
	ds_store_2addr_b64 v52, v[16:17], v[6:7] offset1:26
	;; [unrolled: 1-line block ×5, first 2 shown]
	global_wb scope:SCOPE_SE
	s_wait_dscnt 0x0
	s_barrier_signal -1
	s_barrier_wait -1
	global_inv scope:SCOPE_SE
	s_clause 0x4
	global_load_b128 v[2:5], v51, s[8:9] offset:312
	global_load_b128 v[6:9], v51, s[8:9] offset:328
	;; [unrolled: 1-line block ×4, first 2 shown]
	global_load_b64 v[55:56], v51, s[8:9] offset:376
	ds_load_2addr_b64 v[18:21], v36 offset1:156
	ds_load_2addr_b64 v[39:42], v1 offset0:56 offset1:212
	ds_load_2addr_b64 v[43:46], v0 offset0:48 offset1:204
	v_lshlrev_b32_e32 v1, 3, v49
	ds_load_2addr_b64 v[47:50], v38 offset0:40 offset1:196
	ds_load_2addr_b64 v[51:54], v37 offset0:96 offset1:252
	global_wb scope:SCOPE_SE
	s_wait_loadcnt_dscnt 0x0
	s_barrier_signal -1
	v_add3_u32 v57, 0, v35, v1
	v_add_nc_u32_e32 v35, 0x900, v36
	s_barrier_wait -1
	global_inv scope:SCOPE_SE
	v_add_nc_u32_e32 v58, 0x400, v57
	v_add_nc_u32_e32 v37, 0x800, v57
	v_mul_f32_e32 v0, v3, v21
	v_mul_f32_e32 v59, v3, v20
	;; [unrolled: 1-line block ×5, first 2 shown]
	v_dual_mul_f32 v7, v7, v41 :: v_dual_mul_f32 v60, v9, v44
	v_dual_fmac_f32 v59, v2, v21 :: v_dual_add_nc_u32 v38, 0x2000, v36
	v_mul_f32_e32 v9, v9, v43
	v_mul_f32_e32 v61, v11, v46
	;; [unrolled: 1-line block ×3, first 2 shown]
	v_dual_mul_f32 v62, v48, v13 :: v_dual_mul_f32 v63, v50, v15
	v_dual_mul_f32 v15, v49, v15 :: v_dual_mul_f32 v64, v52, v17
	v_mul_f32_e32 v17, v51, v17
	v_fmac_f32_e32 v3, v4, v40
	v_fma_f32 v20, v2, v20, -v0
	s_delay_alu instid0(VALU_DEP_4)
	v_fmac_f32_e32 v15, v50, v14
	v_fma_f32 v0, v4, v39, -v1
	v_fmac_f32_e32 v7, v6, v42
	v_fma_f32 v2, v8, v43, -v60
	v_mul_f32_e32 v13, v47, v13
	v_mul_f32_e32 v65, v54, v56
	;; [unrolled: 1-line block ×3, first 2 shown]
	v_fma_f32 v1, v6, v41, -v5
	v_sub_f32_e32 v39, v0, v2
	v_fmac_f32_e32 v9, v8, v44
	v_fmac_f32_e32 v11, v10, v46
	;; [unrolled: 1-line block ×3, first 2 shown]
	v_fma_f32 v5, v47, v12, -v62
	v_fma_f32 v8, v51, v16, -v64
	v_dual_fmac_f32 v17, v52, v16 :: v_dual_add_f32 v44, v19, v3
	v_fma_f32 v4, v10, v45, -v61
	v_fmac_f32_e32 v13, v48, v12
	v_fma_f32 v6, v49, v14, -v63
	v_add_f32_e32 v14, v2, v5
	v_fma_f32 v10, v53, v55, -v65
	s_delay_alu instid0(VALU_DEP_4)
	v_dual_add_f32 v12, v18, v0 :: v_dual_add_f32 v45, v9, v13
	v_dual_sub_f32 v16, v3, v17 :: v_dual_add_f32 v41, v0, v8
	v_dual_add_f32 v51, v20, v1 :: v_dual_sub_f32 v54, v11, v15
	v_sub_f32_e32 v21, v9, v13
	v_dual_sub_f32 v40, v8, v5 :: v_dual_sub_f32 v43, v5, v8
	v_dual_sub_f32 v42, v2, v0 :: v_dual_sub_f32 v47, v3, v9
	v_dual_sub_f32 v0, v0, v8 :: v_dual_add_f32 v49, v3, v17
	v_dual_sub_f32 v46, v2, v5 :: v_dual_sub_f32 v3, v9, v3
	v_dual_sub_f32 v48, v17, v13 :: v_dual_sub_f32 v53, v7, v56
	v_dual_add_f32 v52, v4, v6 :: v_dual_sub_f32 v55, v1, v4
	v_dual_sub_f32 v60, v10, v6 :: v_dual_add_f32 v65, v11, v15
	v_dual_add_f32 v61, v1, v10 :: v_dual_sub_f32 v62, v4, v1
	v_dual_add_f32 v64, v59, v7 :: v_dual_sub_f32 v1, v1, v10
	v_dual_sub_f32 v66, v4, v6 :: v_dual_sub_f32 v67, v7, v11
	v_dual_sub_f32 v68, v56, v15 :: v_dual_add_f32 v69, v7, v56
	v_dual_sub_f32 v7, v11, v7 :: v_dual_add_f32 v2, v12, v2
	;; [unrolled: 1-line block ×3, first 2 shown]
	v_fma_f32 v71, -0.5, v14, v18
	v_fma_f32 v18, -0.5, v41, v18
	v_add_f32_e32 v4, v51, v4
	v_dual_sub_f32 v50, v13, v17 :: v_dual_sub_f32 v63, v6, v10
	v_add_f32_e32 v12, v39, v40
	v_add_f32_e32 v14, v42, v43
	v_fma_f32 v39, -0.5, v45, v19
	s_delay_alu instid0(VALU_DEP_4)
	v_add_f32_e32 v3, v3, v50
	v_dual_add_f32 v40, v47, v48 :: v_dual_add_f32 v11, v64, v11
	v_fma_f32 v41, -0.5, v52, v20
	v_dual_add_f32 v42, v55, v60 :: v_dual_fmamk_f32 v47, v16, 0x3f737871, v71
	v_fma_f32 v44, -0.5, v65, v59
	v_fmac_f32_e32 v59, -0.5, v69
	v_dual_add_f32 v7, v7, v70 :: v_dual_add_f32 v2, v2, v5
	v_dual_fmac_f32 v71, 0xbf737871, v16 :: v_dual_fmamk_f32 v48, v21, 0xbf737871, v18
	v_fmac_f32_e32 v18, 0x3f737871, v21
	v_dual_add_f32 v5, v9, v13 :: v_dual_add_f32 v4, v4, v6
	v_fma_f32 v19, -0.5, v49, v19
	v_dual_fmamk_f32 v13, v0, 0xbf737871, v39 :: v_dual_add_f32 v2, v2, v8
	v_fmac_f32_e32 v39, 0x3f737871, v0
	v_dual_fmamk_f32 v6, v53, 0x3f737871, v41 :: v_dual_add_f32 v11, v11, v15
	v_dual_fmac_f32 v41, 0xbf737871, v53 :: v_dual_add_f32 v4, v4, v10
	v_fmamk_f32 v15, v1, 0xbf737871, v44
	v_dual_fmac_f32 v71, 0xbf167918, v21 :: v_dual_fmac_f32 v18, 0xbf167918, v16
	v_dual_fmac_f32 v20, -0.5, v61 :: v_dual_add_f32 v45, v67, v68
	v_add_f32_e32 v43, v62, v63
	v_fmamk_f32 v49, v46, 0x3f737871, v19
	v_dual_fmac_f32 v19, 0xbf737871, v46 :: v_dual_add_f32 v8, v11, v56
	v_dual_fmac_f32 v47, 0x3f167918, v21 :: v_dual_fmac_f32 v48, 0x3f167918, v16
	v_dual_fmac_f32 v71, 0x3e9e377a, v12 :: v_dual_fmac_f32 v18, 0x3e9e377a, v14
	v_fmac_f32_e32 v15, 0xbf167918, v66
	s_delay_alu instid0(VALU_DEP_4) | instskip(NEXT) | instid1(VALU_DEP_4)
	v_dual_fmac_f32 v19, 0x3f167918, v0 :: v_dual_fmac_f32 v6, 0x3f167918, v54
	v_dual_fmac_f32 v47, 0x3e9e377a, v12 :: v_dual_fmac_f32 v48, 0x3e9e377a, v14
	s_delay_alu instid0(VALU_DEP_3) | instskip(SKIP_1) | instid1(VALU_DEP_4)
	v_fmac_f32_e32 v15, 0x3e9e377a, v45
	v_fmac_f32_e32 v39, 0x3f167918, v46
	;; [unrolled: 1-line block ×3, first 2 shown]
	v_dual_fmamk_f32 v50, v66, 0x3f737871, v59 :: v_dual_add_f32 v5, v5, v17
	s_delay_alu instid0(VALU_DEP_4) | instskip(NEXT) | instid1(VALU_DEP_4)
	v_mul_f32_e32 v12, 0x3f167918, v15
	v_fmac_f32_e32 v39, 0x3e9e377a, v40
	v_fmac_f32_e32 v59, 0xbf737871, v66
	;; [unrolled: 1-line block ×5, first 2 shown]
	v_fmamk_f32 v9, v54, 0xbf737871, v20
	v_fmac_f32_e32 v20, 0x3f737871, v54
	v_fmac_f32_e32 v13, 0xbf167918, v46
	;; [unrolled: 1-line block ×3, first 2 shown]
	v_add_f32_e32 v0, v2, v4
	v_sub_f32_e32 v2, v2, v4
	v_fmac_f32_e32 v20, 0xbf167918, v53
	v_fmac_f32_e32 v59, 0x3f167918, v1
	v_dual_fmac_f32 v13, 0x3e9e377a, v40 :: v_dual_fmac_f32 v50, 0x3e9e377a, v7
	s_delay_alu instid0(VALU_DEP_3) | instskip(SKIP_1) | instid1(VALU_DEP_4)
	v_dual_add_f32 v1, v5, v8 :: v_dual_fmac_f32 v20, 0x3e9e377a, v43
	v_fmac_f32_e32 v19, 0x3e9e377a, v3
	v_fmac_f32_e32 v59, 0x3e9e377a, v7
	;; [unrolled: 1-line block ×3, first 2 shown]
	s_delay_alu instid0(VALU_DEP_4) | instskip(SKIP_1) | instid1(VALU_DEP_3)
	v_dual_fmac_f32 v49, 0x3e9e377a, v3 :: v_dual_mul_f32 v4, 0x3e9e377a, v20
	v_dual_sub_f32 v3, v5, v8 :: v_dual_mul_f32 v14, 0x3f737871, v50
	v_fmac_f32_e32 v44, 0x3e9e377a, v45
	s_delay_alu instid0(VALU_DEP_3) | instskip(SKIP_4) | instid1(VALU_DEP_4)
	v_fma_f32 v16, 0x3f737871, v59, -v4
	v_dual_fmac_f32 v41, 0xbf167918, v54 :: v_dual_add_f32 v4, v47, v12
	v_fmac_f32_e32 v9, 0x3f167918, v53
	v_mul_f32_e32 v17, 0xbf167918, v6
	v_mul_f32_e32 v8, 0x3f4f1bbd, v44
	v_dual_fmac_f32 v41, 0x3e9e377a, v42 :: v_dual_sub_f32 v12, v47, v12
	s_delay_alu instid0(VALU_DEP_4) | instskip(NEXT) | instid1(VALU_DEP_2)
	v_fmac_f32_e32 v9, 0x3e9e377a, v43
	v_mul_f32_e32 v5, 0x3f4f1bbd, v41
	s_delay_alu instid0(VALU_DEP_4) | instskip(NEXT) | instid1(VALU_DEP_3)
	v_fma_f32 v41, 0xbf167918, v41, -v8
	v_dual_fmac_f32 v14, 0x3e9e377a, v9 :: v_dual_mul_f32 v7, 0x3e9e377a, v59
	v_add_f32_e32 v8, v18, v16
	s_delay_alu instid0(VALU_DEP_4) | instskip(NEXT) | instid1(VALU_DEP_3)
	v_fma_f32 v40, 0x3f167918, v44, -v5
	v_dual_mul_f32 v21, 0xbf737871, v9 :: v_dual_add_f32 v6, v48, v14
	v_sub_f32_e32 v14, v48, v14
	v_sub_f32_e32 v18, v18, v16
	s_delay_alu instid0(VALU_DEP_4) | instskip(NEXT) | instid1(VALU_DEP_4)
	v_dual_sub_f32 v16, v71, v40 :: v_dual_fmac_f32 v17, 0x3f4f1bbd, v15
	v_fmac_f32_e32 v21, 0x3e9e377a, v50
	v_fma_f32 v20, 0xbf737871, v20, -v7
	v_add_f32_e32 v10, v71, v40
	v_add_f32_e32 v11, v39, v41
	;; [unrolled: 1-line block ×5, first 2 shown]
	v_sub_f32_e32 v13, v13, v17
	v_sub_f32_e32 v15, v49, v21
	;; [unrolled: 1-line block ×4, first 2 shown]
	ds_store_2addr_b64 v57, v[0:1], v[4:5] offset1:52
	ds_store_2addr_b64 v57, v[6:7], v[8:9] offset0:104 offset1:156
	ds_store_2addr_b64 v58, v[10:11], v[2:3] offset0:80 offset1:132
	;; [unrolled: 1-line block ×4, first 2 shown]
	global_wb scope:SCOPE_SE
	s_wait_dscnt 0x0
	s_barrier_signal -1
	s_barrier_wait -1
	global_inv scope:SCOPE_SE
	ds_load_2addr_b64 v[4:7], v36 offset1:156
	ds_load_2addr_b64 v[0:3], v35 offset0:24 offset1:232
	ds_load_2addr_b64 v[12:15], v38 offset0:16 offset1:172
	;; [unrolled: 1-line block ×3, first 2 shown]
	ds_load_b64 v[20:21], v36 offset:10816
	s_and_saveexec_b32 s1, s0
	s_cbranch_execz .LBB0_17
; %bb.16:
	ds_load_b64 v[16:17], v36 offset:3744
	ds_load_b64 v[32:33], v36 offset:7904
	;; [unrolled: 1-line block ×3, first 2 shown]
.LBB0_17:
	s_wait_alu 0xfffe
	s_or_b32 exec_lo, exec_lo, s1
	v_dual_mov_b32 v19, 0 :: v_dual_lshlrev_b32 v18, 1, v26
	s_delay_alu instid0(VALU_DEP_1) | instskip(NEXT) | instid1(VALU_DEP_1)
	v_lshlrev_b64_e32 v[39:40], 3, v[18:19]
	v_add_co_u32 v39, s1, s8, v39
	s_wait_alu 0xf1ff
	s_delay_alu instid0(VALU_DEP_2) | instskip(SKIP_2) | instid1(VALU_DEP_1)
	v_add_co_ci_u32_e64 v40, s1, s9, v40, s1
	global_load_b128 v[39:42], v[39:40], off offset:4056
	v_lshlrev_b32_e32 v18, 1, v34
	v_lshlrev_b64_e32 v[43:44], 3, v[18:19]
	s_delay_alu instid0(VALU_DEP_1) | instskip(SKIP_1) | instid1(VALU_DEP_2)
	v_add_co_u32 v43, s1, s8, v43
	s_wait_alu 0xf1ff
	v_add_co_ci_u32_e64 v44, s1, s9, v44, s1
	global_load_b128 v[43:46], v[43:44], off offset:4056
	s_wait_loadcnt_dscnt 0x103
	v_dual_mul_f32 v27, v40, v2 :: v_dual_lshlrev_b32 v18, 1, v23
	s_delay_alu instid0(VALU_DEP_1) | instskip(SKIP_2) | instid1(VALU_DEP_3)
	v_lshlrev_b64_e32 v[47:48], 3, v[18:19]
	s_wait_dscnt 0x2
	v_dual_mul_f32 v23, v40, v3 :: v_dual_mul_f32 v34, v42, v13
	v_dual_fmac_f32 v27, v39, v3 :: v_dual_add_nc_u32 v18, 0x1400, v36
	v_mul_f32_e32 v37, v42, v12
	s_delay_alu instid0(VALU_DEP_4)
	v_add_co_u32 v47, s1, s8, v47
	s_wait_alu 0xf1ff
	v_add_co_ci_u32_e64 v48, s1, s9, v48, s1
	v_fma_f32 v2, v39, v2, -v23
	v_add_f32_e32 v42, v5, v27
	global_load_b128 v[47:50], v[47:48], off offset:4056
	global_wb scope:SCOPE_SE
	s_wait_loadcnt_dscnt 0x0
	s_barrier_signal -1
	s_barrier_wait -1
	global_inv scope:SCOPE_SE
	v_mul_f32_e32 v23, v44, v8
	v_fma_f32 v3, v41, v12, -v34
	v_mul_f32_e32 v12, v44, v9
	v_dual_mul_f32 v34, v46, v15 :: v_dual_fmac_f32 v37, v41, v13
	v_mul_f32_e32 v39, v46, v14
	v_fmac_f32_e32 v23, v43, v9
	s_delay_alu instid0(VALU_DEP_4) | instskip(NEXT) | instid1(VALU_DEP_4)
	v_fma_f32 v8, v43, v8, -v12
	v_fma_f32 v12, v45, v14, -v34
	s_delay_alu instid0(VALU_DEP_4) | instskip(SKIP_1) | instid1(VALU_DEP_1)
	v_dual_add_f32 v34, v4, v2 :: v_dual_fmac_f32 v39, v45, v15
	v_dual_sub_f32 v41, v27, v37 :: v_dual_add_f32 v40, v2, v3
	v_fma_f32 v4, -0.5, v40, v4
	v_sub_f32_e32 v43, v2, v3
	s_delay_alu instid0(VALU_DEP_4) | instskip(NEXT) | instid1(VALU_DEP_1)
	v_dual_add_f32 v2, v34, v3 :: v_dual_add_f32 v27, v27, v37
	v_fma_f32 v5, -0.5, v27, v5
	v_mul_f32_e32 v9, v48, v11
	v_dual_mul_f32 v13, v48, v10 :: v_dual_mul_f32 v14, v50, v21
	v_mul_f32_e32 v15, v50, v20
	s_delay_alu instid0(VALU_DEP_3) | instskip(NEXT) | instid1(VALU_DEP_3)
	v_fma_f32 v44, v47, v10, -v9
	v_dual_add_f32 v10, v6, v8 :: v_dual_fmac_f32 v13, v47, v11
	s_delay_alu instid0(VALU_DEP_4) | instskip(SKIP_1) | instid1(VALU_DEP_3)
	v_fma_f32 v14, v49, v20, -v14
	v_dual_add_f32 v11, v8, v12 :: v_dual_sub_f32 v20, v23, v39
	v_dual_fmac_f32 v15, v49, v21 :: v_dual_add_f32 v10, v10, v12
	s_delay_alu instid0(VALU_DEP_3) | instskip(NEXT) | instid1(VALU_DEP_3)
	v_sub_f32_e32 v40, v44, v14
	v_fma_f32 v6, -0.5, v11, v6
	v_add_f32_e32 v21, v7, v23
	v_add_f32_e32 v23, v23, v39
	v_dual_add_f32 v3, v42, v37 :: v_dual_sub_f32 v34, v13, v15
	v_sub_f32_e32 v27, v8, v12
	v_fmamk_f32 v12, v20, 0x3f5db3d7, v6
	s_delay_alu instid0(VALU_DEP_4)
	v_dual_fmac_f32 v6, 0xbf5db3d7, v20 :: v_dual_fmac_f32 v7, -0.5, v23
	v_add_f32_e32 v23, v44, v14
	v_add_f32_e32 v11, v21, v39
	;; [unrolled: 1-line block ×5, first 2 shown]
	v_fma_f32 v0, -0.5, v23, v0
	s_delay_alu instid0(VALU_DEP_4) | instskip(SKIP_1) | instid1(VALU_DEP_3)
	v_dual_fmamk_f32 v8, v41, 0x3f5db3d7, v4 :: v_dual_fmac_f32 v1, -0.5, v39
	v_dual_fmac_f32 v4, 0xbf5db3d7, v41 :: v_dual_fmamk_f32 v9, v43, 0xbf5db3d7, v5
	v_dual_fmac_f32 v5, 0x3f5db3d7, v43 :: v_dual_fmamk_f32 v20, v34, 0x3f5db3d7, v0
	;; [unrolled: 1-line block ×3, first 2 shown]
	v_dual_fmac_f32 v7, 0x3f5db3d7, v27 :: v_dual_add_f32 v14, v21, v14
	v_add_f32_e32 v15, v37, v15
	v_fmamk_f32 v21, v40, 0xbf5db3d7, v1
	v_fmac_f32_e32 v1, 0x3f5db3d7, v40
	ds_store_2addr_b64 v36, v[2:3], v[10:11] offset1:156
	ds_store_2addr_b64 v38, v[4:5], v[6:7] offset0:16 offset1:172
	ds_store_2addr_b64 v35, v[14:15], v[8:9] offset0:24 offset1:232
	;; [unrolled: 1-line block ×3, first 2 shown]
	ds_store_b64 v36, v[0:1] offset:10816
	s_and_saveexec_b32 s1, s0
	s_cbranch_execz .LBB0_19
; %bb.18:
	v_subrev_nc_u32_e32 v0, 52, v26
	s_delay_alu instid0(VALU_DEP_1) | instskip(NEXT) | instid1(VALU_DEP_1)
	v_cndmask_b32_e64 v0, v0, v22, s0
	v_lshlrev_b32_e32 v18, 1, v0
	s_delay_alu instid0(VALU_DEP_1) | instskip(NEXT) | instid1(VALU_DEP_1)
	v_lshlrev_b64_e32 v[0:1], 3, v[18:19]
	v_add_co_u32 v0, s0, s8, v0
	s_wait_alu 0xf1ff
	s_delay_alu instid0(VALU_DEP_2) | instskip(SKIP_4) | instid1(VALU_DEP_2)
	v_add_co_ci_u32_e64 v1, s0, s9, v1, s0
	global_load_b128 v[0:3], v[0:1], off offset:4056
	s_wait_loadcnt 0x0
	v_mul_f32_e32 v5, v32, v1
	v_dual_mul_f32 v4, v33, v1 :: v_dual_mul_f32 v1, v31, v3
	v_dual_mul_f32 v6, v30, v3 :: v_dual_fmac_f32 v5, v33, v0
	s_delay_alu instid0(VALU_DEP_2) | instskip(NEXT) | instid1(VALU_DEP_2)
	v_fma_f32 v3, v32, v0, -v4
	v_fmac_f32_e32 v6, v31, v2
	s_delay_alu instid0(VALU_DEP_4) | instskip(NEXT) | instid1(VALU_DEP_3)
	v_fma_f32 v2, v30, v2, -v1
	v_dual_add_f32 v8, v17, v5 :: v_dual_add_f32 v9, v16, v3
	s_delay_alu instid0(VALU_DEP_2) | instskip(NEXT) | instid1(VALU_DEP_4)
	v_sub_f32_e32 v4, v3, v2
	v_add_f32_e32 v0, v5, v6
	v_add_f32_e32 v7, v3, v2
	s_delay_alu instid0(VALU_DEP_4) | instskip(NEXT) | instid1(VALU_DEP_3)
	v_add_f32_e32 v2, v9, v2
	v_fma_f32 v1, -0.5, v0, v17
	v_sub_f32_e32 v10, v5, v6
	s_delay_alu instid0(VALU_DEP_4) | instskip(SKIP_1) | instid1(VALU_DEP_4)
	v_fma_f32 v0, -0.5, v7, v16
	v_add_f32_e32 v3, v8, v6
	v_fmamk_f32 v5, v4, 0x3f5db3d7, v1
	s_delay_alu instid0(VALU_DEP_3)
	v_dual_fmac_f32 v1, 0xbf5db3d7, v4 :: v_dual_fmamk_f32 v4, v10, 0xbf5db3d7, v0
	v_fmac_f32_e32 v0, 0x3f5db3d7, v10
	ds_store_b64 v36, v[2:3] offset:3744
	ds_store_b64 v36, v[0:1] offset:7904
	;; [unrolled: 1-line block ×3, first 2 shown]
.LBB0_19:
	s_wait_alu 0xfffe
	s_or_b32 exec_lo, exec_lo, s1
	global_wb scope:SCOPE_SE
	s_wait_dscnt 0x0
	s_barrier_signal -1
	s_barrier_wait -1
	global_inv scope:SCOPE_SE
	ds_load_b64 v[2:3], v36
	v_lshlrev_b32_e32 v0, 3, v26
	s_mov_b32 s1, exec_lo
                                        ; implicit-def: $vgpr7
                                        ; implicit-def: $vgpr8
                                        ; implicit-def: $vgpr4_vgpr5
	s_delay_alu instid0(VALU_DEP_1)
	v_sub_nc_u32_e32 v6, 0, v0
                                        ; implicit-def: $vgpr0
	v_cmpx_ne_u32_e32 0, v26
	s_wait_alu 0xfffe
	s_xor_b32 s1, exec_lo, s1
	s_cbranch_execz .LBB0_21
; %bb.20:
	ds_load_b64 v[4:5], v6 offset:12480
	s_wait_dscnt 0x0
	v_dual_mov_b32 v27, 0 :: v_dual_add_f32 v8, v5, v3
	s_delay_alu instid0(VALU_DEP_1) | instskip(SKIP_2) | instid1(VALU_DEP_2)
	v_lshlrev_b64_e32 v[0:1], 3, v[26:27]
	v_dual_sub_f32 v7, v2, v4 :: v_dual_add_f32 v2, v4, v2
	v_sub_f32_e32 v3, v3, v5
	v_mul_f32_e32 v5, 0.5, v7
	s_delay_alu instid0(VALU_DEP_4)
	v_add_co_u32 v0, s0, s8, v0
	s_wait_alu 0xf1ff
	v_add_co_ci_u32_e64 v1, s0, s9, v1, s0
	v_mul_f32_e32 v3, 0.5, v3
	global_load_b64 v[0:1], v[0:1], off offset:12376
	s_wait_loadcnt 0x0
	v_dual_mul_f32 v9, 0.5, v8 :: v_dual_mul_f32 v4, v1, v5
	s_delay_alu instid0(VALU_DEP_1) | instskip(SKIP_1) | instid1(VALU_DEP_3)
	v_fma_f32 v8, v9, v1, v3
	v_fma_f32 v1, v9, v1, -v3
	v_fma_f32 v7, 0.5, v2, v4
	v_fma_f32 v2, v2, 0.5, -v4
	s_delay_alu instid0(VALU_DEP_4) | instskip(NEXT) | instid1(VALU_DEP_4)
	v_fma_f32 v8, -v0, v5, v8
	v_fma_f32 v1, -v0, v5, v1
	s_delay_alu instid0(VALU_DEP_4) | instskip(NEXT) | instid1(VALU_DEP_4)
	v_dual_mov_b32 v4, v26 :: v_dual_fmac_f32 v7, v0, v9
	v_fma_f32 v0, -v0, v9, v2
	v_mov_b32_e32 v5, v27
                                        ; implicit-def: $vgpr2_vgpr3
.LBB0_21:
	s_wait_alu 0xfffe
	s_and_not1_saveexec_b32 s0, s1
	s_cbranch_execz .LBB0_23
; %bb.22:
	s_wait_dscnt 0x0
	v_dual_mov_b32 v8, 0 :: v_dual_add_f32 v7, v2, v3
	v_mov_b32_e32 v4, 0
	v_dual_sub_f32 v0, v2, v3 :: v_dual_mov_b32 v5, 0
	ds_load_b32 v1, v8 offset:6244
	s_wait_dscnt 0x0
	v_xor_b32_e32 v2, 0x80000000, v1
	v_mov_b32_e32 v1, 0
	ds_store_b32 v8, v2 offset:6244
.LBB0_23:
	s_wait_alu 0xfffe
	s_or_b32 exec_lo, exec_lo, s0
	s_wait_dscnt 0x0
	v_lshlrev_b64_e32 v[2:3], 3, v[4:5]
	s_add_nc_u64 s[0:1], s[8:9], 0x3058
	s_wait_alu 0xfffe
	s_delay_alu instid0(VALU_DEP_1) | instskip(SKIP_1) | instid1(VALU_DEP_2)
	v_add_co_u32 v2, s0, s0, v2
	s_wait_alu 0xf1ff
	v_add_co_ci_u32_e64 v3, s0, s1, v3, s0
	s_clause 0x3
	global_load_b64 v[4:5], v[2:3], off offset:1248
	global_load_b64 v[9:10], v[2:3], off offset:2496
	;; [unrolled: 1-line block ×4, first 2 shown]
	ds_store_2addr_b32 v36, v7, v8 offset1:1
	ds_store_b64 v6, v[0:1] offset:12480
	ds_load_b64 v[0:1], v36 offset:1248
	ds_load_b64 v[7:8], v6 offset:11232
	s_wait_dscnt 0x0
	v_dual_sub_f32 v13, v0, v7 :: v_dual_add_f32 v14, v1, v8
	v_dual_sub_f32 v1, v1, v8 :: v_dual_add_f32 v0, v0, v7
	s_delay_alu instid0(VALU_DEP_2) | instskip(NEXT) | instid1(VALU_DEP_2)
	v_dual_mul_f32 v8, 0.5, v13 :: v_dual_mul_f32 v13, 0.5, v14
	v_mul_f32_e32 v1, 0.5, v1
	s_wait_loadcnt 0x3
	s_delay_alu instid0(VALU_DEP_2) | instskip(NEXT) | instid1(VALU_DEP_2)
	v_mul_f32_e32 v7, v5, v8
	v_fma_f32 v14, v13, v5, v1
	v_fma_f32 v1, v13, v5, -v1
	s_delay_alu instid0(VALU_DEP_3)
	v_fma_f32 v5, 0.5, v0, v7
	v_fma_f32 v0, v0, 0.5, -v7
	v_add_nc_u32_e32 v7, 0x400, v36
	v_fma_f32 v14, -v4, v8, v14
	v_fma_f32 v1, -v4, v8, v1
	v_fmac_f32_e32 v5, v4, v13
	v_fma_f32 v0, -v4, v13, v0
	ds_store_2addr_b32 v7, v5, v14 offset0:56 offset1:57
	ds_store_b64 v6, v[0:1] offset:11232
	ds_load_b64 v[0:1], v36 offset:2496
	ds_load_b64 v[4:5], v6 offset:9984
	s_wait_dscnt 0x0
	v_dual_sub_f32 v7, v0, v4 :: v_dual_add_f32 v8, v1, v5
	v_dual_sub_f32 v1, v1, v5 :: v_dual_add_f32 v0, v0, v4
	s_delay_alu instid0(VALU_DEP_2) | instskip(NEXT) | instid1(VALU_DEP_3)
	v_mul_f32_e32 v5, 0.5, v7
	v_mul_f32_e32 v7, 0.5, v8
	s_delay_alu instid0(VALU_DEP_3) | instskip(SKIP_1) | instid1(VALU_DEP_3)
	v_mul_f32_e32 v1, 0.5, v1
	s_wait_loadcnt 0x2
	v_mul_f32_e32 v4, v10, v5
	s_delay_alu instid0(VALU_DEP_2) | instskip(SKIP_1) | instid1(VALU_DEP_3)
	v_fma_f32 v8, v7, v10, v1
	v_fma_f32 v1, v7, v10, -v1
	v_fma_f32 v10, 0.5, v0, v4
	v_fma_f32 v0, v0, 0.5, -v4
	v_add_nc_u32_e32 v4, 0x800, v36
	v_fma_f32 v8, -v9, v5, v8
	v_fma_f32 v1, -v9, v5, v1
	v_fmac_f32_e32 v10, v9, v7
	v_fma_f32 v0, -v9, v7, v0
	ds_store_2addr_b32 v4, v10, v8 offset0:112 offset1:113
	ds_store_b64 v6, v[0:1] offset:9984
	ds_load_b64 v[0:1], v36 offset:3744
	ds_load_b64 v[4:5], v6 offset:8736
	s_wait_dscnt 0x0
	v_dual_sub_f32 v7, v0, v4 :: v_dual_add_f32 v8, v1, v5
	v_dual_sub_f32 v1, v1, v5 :: v_dual_add_f32 v0, v0, v4
	s_delay_alu instid0(VALU_DEP_2) | instskip(NEXT) | instid1(VALU_DEP_3)
	v_mul_f32_e32 v5, 0.5, v7
	v_mul_f32_e32 v7, 0.5, v8
	s_delay_alu instid0(VALU_DEP_3) | instskip(SKIP_1) | instid1(VALU_DEP_3)
	v_mul_f32_e32 v1, 0.5, v1
	s_wait_loadcnt 0x1
	v_mul_f32_e32 v4, v12, v5
	s_delay_alu instid0(VALU_DEP_2) | instskip(SKIP_1) | instid1(VALU_DEP_3)
	v_fma_f32 v8, v7, v12, v1
	v_fma_f32 v1, v7, v12, -v1
	;; [unrolled: 24-line block ×3, first 2 shown]
	v_fma_f32 v3, 0.5, v0, v4
	v_fma_f32 v0, v0, 0.5, -v4
	v_add_nc_u32_e32 v4, 0x1000, v36
	v_fma_f32 v8, -v2, v5, v8
	v_fma_f32 v1, -v2, v5, v1
	v_fmac_f32_e32 v3, v2, v7
	v_fma_f32 v0, -v2, v7, v0
	ds_store_2addr_b32 v4, v3, v8 offset0:224 offset1:225
	ds_store_b64 v6, v[0:1] offset:7488
	global_wb scope:SCOPE_SE
	s_wait_dscnt 0x0
	s_barrier_signal -1
	s_barrier_wait -1
	global_inv scope:SCOPE_SE
	s_and_saveexec_b32 s0, vcc_lo
	s_cbranch_execz .LBB0_26
; %bb.24:
	v_mul_lo_u32 v2, s3, v28
	v_mul_lo_u32 v3, s2, v29
	v_mad_co_u64_u32 v[0:1], null, s2, v28, 0
	v_dual_mov_b32 v27, 0 :: v_dual_add_nc_u32 v8, 0x9c, v26
	v_lshl_add_u32 v22, v26, 3, 0
	v_lshlrev_b64_e32 v[6:7], 3, v[24:25]
	s_delay_alu instid0(VALU_DEP_3) | instskip(SKIP_1) | instid1(VALU_DEP_4)
	v_dual_mov_b32 v9, v27 :: v_dual_add_nc_u32 v10, 0x138, v26
	v_add3_u32 v1, v1, v3, v2
	v_dual_mov_b32 v11, v27 :: v_dual_add_nc_u32 v16, 0x800, v22
	ds_load_2addr_b64 v[2:5], v22 offset1:156
	v_lshlrev_b64_e32 v[12:13], 3, v[26:27]
	v_lshlrev_b64_e32 v[0:1], 3, v[0:1]
	;; [unrolled: 1-line block ×4, first 2 shown]
	v_dual_mov_b32 v19, v27 :: v_dual_add_nc_u32 v18, 0x270, v26
	v_dual_mov_b32 v21, v27 :: v_dual_add_nc_u32 v20, 0x30c, v26
	v_add_co_u32 v0, vcc_lo, s6, v0
	s_wait_alu 0xfffd
	v_add_co_ci_u32_e32 v1, vcc_lo, s7, v1, vcc_lo
	v_mov_b32_e32 v17, v27
	s_delay_alu instid0(VALU_DEP_3) | instskip(SKIP_1) | instid1(VALU_DEP_3)
	v_add_co_u32 v0, vcc_lo, v0, v6
	s_wait_alu 0xfffd
	v_add_co_ci_u32_e32 v1, vcc_lo, v1, v7, vcc_lo
	ds_load_2addr_b64 v[6:9], v16 offset0:56 offset1:212
	v_add_nc_u32_e32 v16, 0x1d4, v26
	v_add_co_u32 v12, vcc_lo, v0, v12
	s_wait_alu 0xfffd
	v_add_co_ci_u32_e32 v13, vcc_lo, v1, v13, vcc_lo
	v_add_co_u32 v14, vcc_lo, v0, v14
	v_lshlrev_b64_e32 v[16:17], 3, v[16:17]
	s_wait_alu 0xfffd
	v_add_co_ci_u32_e32 v15, vcc_lo, v1, v15, vcc_lo
	v_add_co_u32 v10, vcc_lo, v0, v10
	s_wait_alu 0xfffd
	v_add_co_ci_u32_e32 v11, vcc_lo, v1, v11, vcc_lo
	v_add_co_u32 v16, vcc_lo, v0, v16
	s_wait_alu 0xfffd
	v_add_co_ci_u32_e32 v17, vcc_lo, v1, v17, vcc_lo
	v_lshlrev_b64_e32 v[18:19], 3, v[18:19]
	s_wait_dscnt 0x1
	s_clause 0x1
	global_store_b64 v[12:13], v[2:3], off
	global_store_b64 v[14:15], v[4:5], off
	s_wait_dscnt 0x0
	s_clause 0x1
	global_store_b64 v[10:11], v[6:7], off
	global_store_b64 v[16:17], v[8:9], off
	v_dual_mov_b32 v11, v27 :: v_dual_add_nc_u32 v10, 0x3a8, v26
	v_lshlrev_b64_e32 v[6:7], 3, v[20:21]
	v_add_nc_u32_e32 v23, 0x1200, v22
	v_add_co_u32 v14, vcc_lo, v0, v18
	s_delay_alu instid0(VALU_DEP_4)
	v_lshlrev_b64_e32 v[10:11], 3, v[10:11]
	s_wait_alu 0xfffd
	v_add_co_ci_u32_e32 v15, vcc_lo, v1, v19, vcc_lo
	v_dual_mov_b32 v13, v27 :: v_dual_add_nc_u32 v8, 0x1c00, v22
	v_dual_mov_b32 v19, v27 :: v_dual_add_nc_u32 v12, 0x444, v26
	v_add_co_u32 v16, vcc_lo, v0, v6
	v_add_nc_u32_e32 v24, 0x2400, v22
	s_wait_alu 0xfffd
	v_add_co_ci_u32_e32 v17, vcc_lo, v1, v7, vcc_lo
	v_dual_mov_b32 v25, v27 :: v_dual_add_nc_u32 v18, 0x4e0, v26
	v_add_co_u32 v20, vcc_lo, v0, v10
	ds_load_2addr_b64 v[2:5], v23 offset0:48 offset1:204
	v_lshlrev_b64_e32 v[22:23], 3, v[12:13]
	s_wait_alu 0xfffd
	v_add_co_ci_u32_e32 v21, vcc_lo, v1, v11, vcc_lo
	ds_load_2addr_b64 v[10:13], v24 offset0:96 offset1:252
	v_add_nc_u32_e32 v24, 0x57c, v26
	ds_load_2addr_b64 v[6:9], v8 offset0:40 offset1:196
	v_lshlrev_b64_e32 v[18:19], 3, v[18:19]
	v_add_co_u32 v22, vcc_lo, v0, v22
	v_lshlrev_b64_e32 v[24:25], 3, v[24:25]
	s_wait_alu 0xfffd
	v_add_co_ci_u32_e32 v23, vcc_lo, v1, v23, vcc_lo
	s_delay_alu instid0(VALU_DEP_4)
	v_add_co_u32 v18, vcc_lo, v0, v18
	s_wait_alu 0xfffd
	v_add_co_ci_u32_e32 v19, vcc_lo, v1, v19, vcc_lo
	v_add_co_u32 v24, vcc_lo, v0, v24
	s_wait_alu 0xfffd
	v_add_co_ci_u32_e32 v25, vcc_lo, v1, v25, vcc_lo
	v_cmp_eq_u32_e32 vcc_lo, 0x9b, v26
	s_wait_dscnt 0x2
	s_clause 0x1
	global_store_b64 v[14:15], v[2:3], off
	global_store_b64 v[16:17], v[4:5], off
	s_wait_dscnt 0x0
	s_clause 0x3
	global_store_b64 v[20:21], v[6:7], off
	global_store_b64 v[22:23], v[8:9], off
	;; [unrolled: 1-line block ×4, first 2 shown]
	s_and_b32 exec_lo, exec_lo, vcc_lo
	s_cbranch_execz .LBB0_26
; %bb.25:
	ds_load_b64 v[2:3], v27 offset:12480
	s_wait_dscnt 0x0
	global_store_b64 v[0:1], v[2:3], off offset:12480
.LBB0_26:
	s_nop 0
	s_sendmsg sendmsg(MSG_DEALLOC_VGPRS)
	s_endpgm
	.section	.rodata,"a",@progbits
	.p2align	6, 0x0
	.amdhsa_kernel fft_rtc_fwd_len1560_factors_13_2_2_10_3_wgs_156_tpt_156_sp_op_CI_CI_unitstride_sbrr_R2C_dirReg
		.amdhsa_group_segment_fixed_size 0
		.amdhsa_private_segment_fixed_size 0
		.amdhsa_kernarg_size 104
		.amdhsa_user_sgpr_count 2
		.amdhsa_user_sgpr_dispatch_ptr 0
		.amdhsa_user_sgpr_queue_ptr 0
		.amdhsa_user_sgpr_kernarg_segment_ptr 1
		.amdhsa_user_sgpr_dispatch_id 0
		.amdhsa_user_sgpr_private_segment_size 0
		.amdhsa_wavefront_size32 1
		.amdhsa_uses_dynamic_stack 0
		.amdhsa_enable_private_segment 0
		.amdhsa_system_sgpr_workgroup_id_x 1
		.amdhsa_system_sgpr_workgroup_id_y 0
		.amdhsa_system_sgpr_workgroup_id_z 0
		.amdhsa_system_sgpr_workgroup_info 0
		.amdhsa_system_vgpr_workitem_id 0
		.amdhsa_next_free_vgpr 112
		.amdhsa_next_free_sgpr 39
		.amdhsa_reserve_vcc 1
		.amdhsa_float_round_mode_32 0
		.amdhsa_float_round_mode_16_64 0
		.amdhsa_float_denorm_mode_32 3
		.amdhsa_float_denorm_mode_16_64 3
		.amdhsa_fp16_overflow 0
		.amdhsa_workgroup_processor_mode 1
		.amdhsa_memory_ordered 1
		.amdhsa_forward_progress 0
		.amdhsa_round_robin_scheduling 0
		.amdhsa_exception_fp_ieee_invalid_op 0
		.amdhsa_exception_fp_denorm_src 0
		.amdhsa_exception_fp_ieee_div_zero 0
		.amdhsa_exception_fp_ieee_overflow 0
		.amdhsa_exception_fp_ieee_underflow 0
		.amdhsa_exception_fp_ieee_inexact 0
		.amdhsa_exception_int_div_zero 0
	.end_amdhsa_kernel
	.text
.Lfunc_end0:
	.size	fft_rtc_fwd_len1560_factors_13_2_2_10_3_wgs_156_tpt_156_sp_op_CI_CI_unitstride_sbrr_R2C_dirReg, .Lfunc_end0-fft_rtc_fwd_len1560_factors_13_2_2_10_3_wgs_156_tpt_156_sp_op_CI_CI_unitstride_sbrr_R2C_dirReg
                                        ; -- End function
	.section	.AMDGPU.csdata,"",@progbits
; Kernel info:
; codeLenInByte = 10804
; NumSgprs: 41
; NumVgprs: 112
; ScratchSize: 0
; MemoryBound: 0
; FloatMode: 240
; IeeeMode: 1
; LDSByteSize: 0 bytes/workgroup (compile time only)
; SGPRBlocks: 5
; VGPRBlocks: 13
; NumSGPRsForWavesPerEU: 41
; NumVGPRsForWavesPerEU: 112
; Occupancy: 12
; WaveLimiterHint : 1
; COMPUTE_PGM_RSRC2:SCRATCH_EN: 0
; COMPUTE_PGM_RSRC2:USER_SGPR: 2
; COMPUTE_PGM_RSRC2:TRAP_HANDLER: 0
; COMPUTE_PGM_RSRC2:TGID_X_EN: 1
; COMPUTE_PGM_RSRC2:TGID_Y_EN: 0
; COMPUTE_PGM_RSRC2:TGID_Z_EN: 0
; COMPUTE_PGM_RSRC2:TIDIG_COMP_CNT: 0
	.text
	.p2alignl 7, 3214868480
	.fill 96, 4, 3214868480
	.type	__hip_cuid_39cdbb26b6f7b1de,@object ; @__hip_cuid_39cdbb26b6f7b1de
	.section	.bss,"aw",@nobits
	.globl	__hip_cuid_39cdbb26b6f7b1de
__hip_cuid_39cdbb26b6f7b1de:
	.byte	0                               ; 0x0
	.size	__hip_cuid_39cdbb26b6f7b1de, 1

	.ident	"AMD clang version 19.0.0git (https://github.com/RadeonOpenCompute/llvm-project roc-6.4.0 25133 c7fe45cf4b819c5991fe208aaa96edf142730f1d)"
	.section	".note.GNU-stack","",@progbits
	.addrsig
	.addrsig_sym __hip_cuid_39cdbb26b6f7b1de
	.amdgpu_metadata
---
amdhsa.kernels:
  - .args:
      - .actual_access:  read_only
        .address_space:  global
        .offset:         0
        .size:           8
        .value_kind:     global_buffer
      - .offset:         8
        .size:           8
        .value_kind:     by_value
      - .actual_access:  read_only
        .address_space:  global
        .offset:         16
        .size:           8
        .value_kind:     global_buffer
      - .actual_access:  read_only
        .address_space:  global
        .offset:         24
        .size:           8
        .value_kind:     global_buffer
      - .actual_access:  read_only
        .address_space:  global
        .offset:         32
        .size:           8
        .value_kind:     global_buffer
      - .offset:         40
        .size:           8
        .value_kind:     by_value
      - .actual_access:  read_only
        .address_space:  global
        .offset:         48
        .size:           8
        .value_kind:     global_buffer
      - .actual_access:  read_only
        .address_space:  global
        .offset:         56
        .size:           8
        .value_kind:     global_buffer
      - .offset:         64
        .size:           4
        .value_kind:     by_value
      - .actual_access:  read_only
        .address_space:  global
        .offset:         72
        .size:           8
        .value_kind:     global_buffer
      - .actual_access:  read_only
        .address_space:  global
        .offset:         80
        .size:           8
        .value_kind:     global_buffer
      - .actual_access:  read_only
        .address_space:  global
        .offset:         88
        .size:           8
        .value_kind:     global_buffer
      - .actual_access:  write_only
        .address_space:  global
        .offset:         96
        .size:           8
        .value_kind:     global_buffer
    .group_segment_fixed_size: 0
    .kernarg_segment_align: 8
    .kernarg_segment_size: 104
    .language:       OpenCL C
    .language_version:
      - 2
      - 0
    .max_flat_workgroup_size: 156
    .name:           fft_rtc_fwd_len1560_factors_13_2_2_10_3_wgs_156_tpt_156_sp_op_CI_CI_unitstride_sbrr_R2C_dirReg
    .private_segment_fixed_size: 0
    .sgpr_count:     41
    .sgpr_spill_count: 0
    .symbol:         fft_rtc_fwd_len1560_factors_13_2_2_10_3_wgs_156_tpt_156_sp_op_CI_CI_unitstride_sbrr_R2C_dirReg.kd
    .uniform_work_group_size: 1
    .uses_dynamic_stack: false
    .vgpr_count:     112
    .vgpr_spill_count: 0
    .wavefront_size: 32
    .workgroup_processor_mode: 1
amdhsa.target:   amdgcn-amd-amdhsa--gfx1201
amdhsa.version:
  - 1
  - 2
...

	.end_amdgpu_metadata
